;; amdgpu-corpus repo=ROCm/rocFFT kind=compiled arch=gfx1201 opt=O3
	.text
	.amdgcn_target "amdgcn-amd-amdhsa--gfx1201"
	.amdhsa_code_object_version 6
	.protected	bluestein_single_fwd_len425_dim1_half_op_CI_CI ; -- Begin function bluestein_single_fwd_len425_dim1_half_op_CI_CI
	.globl	bluestein_single_fwd_len425_dim1_half_op_CI_CI
	.p2align	8
	.type	bluestein_single_fwd_len425_dim1_half_op_CI_CI,@function
bluestein_single_fwd_len425_dim1_half_op_CI_CI: ; @bluestein_single_fwd_len425_dim1_half_op_CI_CI
; %bb.0:
	s_load_b128 s[12:15], s[0:1], 0x28
	v_mul_u32_u24_e32 v1, 0xf10, v0
	s_mov_b32 s2, exec_lo
	s_delay_alu instid0(VALU_DEP_1) | instskip(NEXT) | instid1(VALU_DEP_1)
	v_lshrrev_b32_e32 v1, 16, v1
	v_mad_co_u64_u32 v[24:25], null, ttmp9, 3, v[1:2]
	v_mov_b32_e32 v25, 0
	s_wait_kmcnt 0x0
	s_delay_alu instid0(VALU_DEP_1)
	v_cmpx_gt_u64_e64 s[12:13], v[24:25]
	s_cbranch_execz .LBB0_15
; %bb.1:
	s_clause 0x1
	s_load_b128 s[4:7], s[0:1], 0x18
	s_load_b64 s[12:13], s[0:1], 0x0
	v_mul_lo_u16 v1, v1, 17
	s_delay_alu instid0(VALU_DEP_1) | instskip(NEXT) | instid1(VALU_DEP_1)
	v_sub_nc_u16 v7, v0, v1
	v_and_b32_e32 v101, 0xffff, v7
	s_delay_alu instid0(VALU_DEP_1)
	v_lshlrev_b32_e32 v54, 2, v101
	s_wait_kmcnt 0x0
	s_load_b128 s[8:11], s[4:5], 0x0
	s_clause 0x10
	global_load_b32 v105, v54, s[12:13]
	global_load_b32 v103, v54, s[12:13] offset:100
	global_load_b32 v102, v54, s[12:13] offset:200
	;; [unrolled: 1-line block ×16, first 2 shown]
	s_wait_kmcnt 0x0
	v_mad_co_u64_u32 v[0:1], null, s10, v24, 0
	v_mad_co_u64_u32 v[2:3], null, s8, v101, 0
	s_mul_u64 s[2:3], s[8:9], 25
	s_delay_alu instid0(VALU_DEP_1) | instskip(NEXT) | instid1(VALU_DEP_2)
	v_mad_co_u64_u32 v[4:5], null, s11, v24, v[1:2]
	v_mov_b32_e32 v1, v3
	s_load_b64 s[10:11], s[0:1], 0x38
	s_delay_alu instid0(VALU_DEP_1) | instskip(NEXT) | instid1(VALU_DEP_3)
	v_mad_co_u64_u32 v[5:6], null, s9, v101, v[1:2]
	v_mov_b32_e32 v1, v4
	s_delay_alu instid0(VALU_DEP_1) | instskip(NEXT) | instid1(VALU_DEP_3)
	v_lshlrev_b64_e32 v[0:1], 2, v[0:1]
	v_mov_b32_e32 v3, v5
	s_delay_alu instid0(VALU_DEP_1) | instskip(NEXT) | instid1(VALU_DEP_3)
	v_lshlrev_b64_e32 v[2:3], 2, v[2:3]
	v_add_co_u32 v4, vcc_lo, s14, v0
	s_delay_alu instid0(VALU_DEP_4) | instskip(SKIP_1) | instid1(VALU_DEP_2)
	v_add_co_ci_u32_e32 v5, vcc_lo, s15, v1, vcc_lo
	s_lshl_b64 s[14:15], s[2:3], 2
	v_add_co_u32 v0, vcc_lo, v4, v2
	s_wait_alu 0xfffd
	s_delay_alu instid0(VALU_DEP_2)
	v_add_co_ci_u32_e32 v1, vcc_lo, v5, v3, vcc_lo
	v_add_co_u32 v36, s2, s12, v54
	s_wait_alu 0xfffe
	v_add_co_u32 v2, vcc_lo, v0, s14
	s_wait_alu 0xfffd
	v_add_co_ci_u32_e32 v3, vcc_lo, s15, v1, vcc_lo
	global_load_b32 v6, v[0:1], off
	v_add_co_ci_u32_e64 v37, null, s13, 0, s2
	global_load_b32 v8, v[2:3], off
	v_add_co_u32 v0, vcc_lo, v2, s14
	s_wait_alu 0xfffd
	v_add_co_ci_u32_e32 v1, vcc_lo, s15, v3, vcc_lo
	s_delay_alu instid0(VALU_DEP_2) | instskip(SKIP_1) | instid1(VALU_DEP_2)
	v_add_co_u32 v2, vcc_lo, v0, s14
	s_wait_alu 0xfffd
	v_add_co_ci_u32_e32 v3, vcc_lo, s15, v1, vcc_lo
	s_clause 0x1
	global_load_b32 v9, v[0:1], off
	global_load_b32 v10, v[2:3], off
	v_add_co_u32 v0, vcc_lo, v2, s14
	s_wait_alu 0xfffd
	v_add_co_ci_u32_e32 v1, vcc_lo, s15, v3, vcc_lo
	s_delay_alu instid0(VALU_DEP_2) | instskip(SKIP_1) | instid1(VALU_DEP_2)
	v_add_co_u32 v2, vcc_lo, v0, s14
	s_wait_alu 0xfffd
	v_add_co_ci_u32_e32 v3, vcc_lo, s15, v1, vcc_lo
	global_load_b32 v11, v[0:1], off
	global_load_b32 v12, v[2:3], off
	v_add_co_u32 v0, vcc_lo, v2, s14
	s_wait_alu 0xfffd
	v_add_co_ci_u32_e32 v1, vcc_lo, s15, v3, vcc_lo
	s_delay_alu instid0(VALU_DEP_2) | instskip(SKIP_1) | instid1(VALU_DEP_2)
	v_add_co_u32 v2, vcc_lo, v0, s14
	s_wait_alu 0xfffd
	v_add_co_ci_u32_e32 v3, vcc_lo, s15, v1, vcc_lo
	global_load_b32 v13, v[0:1], off
	v_add_co_u32 v0, vcc_lo, v2, s14
	s_wait_alu 0xfffd
	v_add_co_ci_u32_e32 v1, vcc_lo, s15, v3, vcc_lo
	global_load_b32 v14, v[2:3], off
	global_load_b32 v15, v[0:1], off
	v_add_co_u32 v0, vcc_lo, v0, s14
	s_wait_alu 0xfffd
	v_add_co_ci_u32_e32 v1, vcc_lo, s15, v1, vcc_lo
	s_delay_alu instid0(VALU_DEP_2) | instskip(SKIP_1) | instid1(VALU_DEP_2)
	v_add_co_u32 v2, vcc_lo, v0, s14
	s_wait_alu 0xfffd
	v_add_co_ci_u32_e32 v3, vcc_lo, s15, v1, vcc_lo
	global_load_b32 v16, v[0:1], off
	;; [unrolled: 13-line block ×3, first 2 shown]
	v_add_co_u32 v0, vcc_lo, v2, s14
	s_wait_alu 0xfffd
	v_add_co_ci_u32_e32 v1, vcc_lo, s15, v3, vcc_lo
	global_load_b32 v20, v[2:3], off
	v_add_co_u32 v2, vcc_lo, v0, s14
	s_wait_alu 0xfffd
	v_add_co_ci_u32_e32 v3, vcc_lo, s15, v1, vcc_lo
	global_load_b32 v21, v[0:1], off
	;; [unrolled: 4-line block ×3, first 2 shown]
	global_load_b32 v23, v[0:1], off
	v_mul_hi_u32 v2, 0xaaaaaaab, v24
	v_cmp_gt_u16_e32 vcc_lo, 8, v7
	s_load_b128 s[4:7], s[6:7], 0x0
	s_delay_alu instid0(VALU_DEP_2) | instskip(NEXT) | instid1(VALU_DEP_1)
	v_lshrrev_b32_e32 v2, 1, v2
	v_lshl_add_u32 v2, v2, 1, v2
	s_delay_alu instid0(VALU_DEP_1) | instskip(NEXT) | instid1(VALU_DEP_1)
	v_sub_nc_u32_e32 v2, v24, v2
	v_mul_u32_u24_e32 v2, 0x1a9, v2
	s_delay_alu instid0(VALU_DEP_1) | instskip(NEXT) | instid1(VALU_DEP_1)
	v_lshlrev_b32_e32 v74, 2, v2
	v_dual_mov_b32 v3, v24 :: v_dual_add_nc_u32 v72, v54, v74
	s_delay_alu instid0(VALU_DEP_1)
	v_add_nc_u32_e32 v2, 0x400, v72
	s_wait_loadcnt 0x19
	v_lshrrev_b32_e32 v47, 16, v89
	v_lshrrev_b32_e32 v25, 16, v105
	s_wait_loadcnt 0x18
	v_lshrrev_b32_e32 v46, 16, v87
	v_lshrrev_b32_e32 v53, 16, v103
	;; [unrolled: 3-line block ×4, first 2 shown]
	s_wait_loadcnt 0x15
	v_lshrrev_b32_e32 v42, 16, v40
	s_clause 0x2
	scratch_store_b32 off, v41, off offset:36
	scratch_store_b32 off, v43, off offset:44
	;; [unrolled: 1-line block ×3, first 2 shown]
	v_lshrrev_b32_e32 v51, 16, v97
	v_lshrrev_b32_e32 v50, 16, v95
	;; [unrolled: 1-line block ×4, first 2 shown]
	s_wait_loadcnt 0x14
	v_lshrrev_b32_e32 v39, 16, v35
	s_wait_loadcnt 0x13
	v_lshrrev_b32_e32 v34, 16, v33
	;; [unrolled: 2-line block ×4, first 2 shown]
	s_clause 0xa
	scratch_store_b32 off, v45, off offset:52
	scratch_store_b32 off, v42, off offset:40
	;; [unrolled: 1-line block ×10, first 2 shown]
	scratch_store_b32 off, v29, off
	s_wait_loadcnt 0x10
	v_lshrrev_b32_e32 v7, 16, v6
	v_mul_f16_e32 v24, v25, v6
	s_wait_loadcnt 0xf
	v_lshrrev_b32_e32 v26, 16, v8
	v_mul_f16_e32 v27, v53, v8
	v_mul_f16_e32 v25, v25, v7
	v_fma_f16 v7, v105, v7, -v24
	s_delay_alu instid0(VALU_DEP_2)
	v_fmac_f16_e32 v25, v105, v6
	v_mul_f16_e32 v6, v53, v26
	v_fma_f16 v26, v103, v26, -v27
	s_wait_loadcnt 0xe
	v_lshrrev_b32_e32 v24, 16, v9
	v_mul_f16_e32 v27, v28, v9
	v_pack_b32_f16 v7, v25, v7
	v_fmac_f16_e32 v6, v103, v8
	s_wait_loadcnt 0xd
	v_lshrrev_b32_e32 v25, 16, v10
	v_mul_f16_e32 v8, v28, v24
	v_mul_f16_e32 v28, v52, v10
	v_fma_f16 v24, v102, v24, -v27
	v_pack_b32_f16 v6, v6, v26
	s_delay_alu instid0(VALU_DEP_4)
	v_fmac_f16_e32 v8, v102, v9
	v_mul_f16_e32 v9, v52, v25
	s_wait_loadcnt 0xc
	v_lshrrev_b32_e32 v26, 16, v11
	v_fma_f16 v25, v99, v25, -v28
	v_mul_f16_e32 v27, v51, v11
	ds_store_2addr_b32 v72, v7, v6 offset1:25
	v_pack_b32_f16 v6, v8, v24
	v_fmac_f16_e32 v9, v99, v10
	v_mul_f16_e32 v7, v51, v26
	s_wait_loadcnt 0xb
	v_lshrrev_b32_e32 v8, 16, v12
	v_mul_f16_e32 v10, v50, v12
	v_fma_f16 v24, v97, v26, -v27
	v_pack_b32_f16 v9, v9, v25
	v_fmac_f16_e32 v7, v97, v11
	v_mul_f16_e32 v11, v50, v8
	v_fma_f16 v8, v95, v8, -v10
	s_wait_loadcnt 0xa
	v_lshrrev_b32_e32 v10, 16, v13
	v_mul_f16_e32 v25, v49, v13
	ds_store_2addr_b32 v72, v6, v9 offset0:50 offset1:75
	v_pack_b32_f16 v6, v7, v24
	v_fmac_f16_e32 v11, v95, v12
	v_mul_f16_e32 v7, v49, v10
	s_wait_loadcnt 0x9
	v_lshrrev_b32_e32 v9, 16, v14
	v_mul_f16_e32 v12, v48, v14
	v_fma_f16 v10, v93, v10, -v25
	v_pack_b32_f16 v8, v11, v8
	v_fmac_f16_e32 v7, v93, v13
	v_mul_f16_e32 v11, v48, v9
	v_fma_f16 v9, v91, v9, -v12
	s_wait_loadcnt 0x8
	v_lshrrev_b32_e32 v12, 16, v15
	v_mul_f16_e32 v13, v47, v15
	ds_store_2addr_b32 v72, v6, v8 offset0:100 offset1:125
	;; [unrolled: 15-line block ×4, first 2 shown]
	v_pack_b32_f16 v6, v7, v10
	v_fmac_f16_e32 v11, v41, v18
	s_wait_loadcnt 0x3
	v_lshrrev_b32_e32 v7, 16, v20
	v_mul_f16_e32 v8, v42, v12
	v_fma_f16 v10, v40, v12, -v13
	v_mul_f16_e32 v12, v39, v20
	v_pack_b32_f16 v9, v11, v9
	v_mul_f16_e32 v11, v39, v7
	s_wait_loadcnt 0x2
	v_lshrrev_b32_e32 v13, 16, v21
	s_wait_loadcnt 0x1
	v_lshrrev_b32_e32 v14, 16, v22
	v_fma_f16 v7, v35, v7, -v12
	v_mul_f16_e32 v12, v34, v21
	s_wait_loadcnt 0x0
	v_lshrrev_b32_e32 v16, 16, v23
	v_mul_f16_e32 v15, v34, v13
	v_mul_f16_e32 v17, v32, v14
	v_fmac_f16_e32 v11, v35, v20
	v_fma_f16 v12, v33, v13, -v12
	v_mul_f16_e32 v13, v32, v22
	v_fmac_f16_e32 v8, v40, v19
	v_fmac_f16_e32 v17, v30, v22
	v_mul_f16_e32 v18, v31, v23
	v_mul_f16_e32 v19, v31, v16
	v_fma_f16 v13, v30, v14, -v13
	v_pack_b32_f16 v7, v11, v7
	v_fmac_f16_e32 v15, v33, v21
	v_fma_f16 v14, v29, v16, -v18
	v_fmac_f16_e32 v19, v29, v23
	v_pack_b32_f16 v11, v17, v13
	v_or_b32_e32 v13, 0xc0, v101
	v_pack_b32_f16 v8, v8, v10
	v_pack_b32_f16 v10, v15, v12
	;; [unrolled: 1-line block ×3, first 2 shown]
	scratch_store_b32 off, v13, off offset:68 ; 4-byte Folded Spill
	v_or_b32_e32 v13, 0x188, v101
	scratch_store_b64 off, v[3:4], off offset:56 ; 8-byte Folded Spill
	v_add_nc_u32_e32 v3, 0x200, v72
	scratch_store_b32 off, v13, off offset:64 ; 4-byte Folded Spill
	ds_store_2addr_b32 v3, v6, v9 offset0:122 offset1:147
	ds_store_2addr_b32 v2, v8, v7 offset0:44 offset1:69
	;; [unrolled: 1-line block ×3, first 2 shown]
	ds_store_b32 v72, v12 offset:1600
	s_and_saveexec_b32 s3, vcc_lo
	s_cbranch_execz .LBB0_3
; %bb.2:
	v_mad_co_u64_u32 v[0:1], null, 0xfffffa04, s8, v[0:1]
	s_mul_i32 s2, s9, 0xfffffa04
	v_or_b32_e32 v8, 0xc0, v101
	s_wait_alu 0xfffe
	s_sub_co_i32 s2, s2, s8
	v_or_b32_e32 v12, 0x188, v101
	s_delay_alu instid0(VALU_DEP_2) | instskip(SKIP_2) | instid1(VALU_DEP_3)
	v_mad_co_u64_u32 v[6:7], null, s8, v8, 0
	s_wait_alu 0xfffe
	v_add_nc_u32_e32 v1, s2, v1
	v_mad_co_u64_u32 v[10:11], null, s8, v12, 0
	global_load_b32 v14, v[0:1], off
	v_add_co_u32 v0, s2, v0, s14
	s_wait_alu 0xf1ff
	v_add_co_ci_u32_e64 v1, s2, s15, v1, s2
	v_mad_co_u64_u32 v[7:8], null, s9, v8, v[7:8]
	s_delay_alu instid0(VALU_DEP_3) | instskip(SKIP_1) | instid1(VALU_DEP_3)
	v_add_co_u32 v8, s2, v0, s14
	s_wait_alu 0xf1ff
	v_add_co_ci_u32_e64 v9, s2, s15, v1, s2
	global_load_b32 v15, v[0:1], off
	v_add_co_u32 v0, s2, v8, s14
	s_wait_alu 0xf1ff
	v_add_co_ci_u32_e64 v1, s2, s15, v9, s2
	v_mad_co_u64_u32 v[11:12], null, s9, v12, v[11:12]
	s_delay_alu instid0(VALU_DEP_3) | instskip(SKIP_1) | instid1(VALU_DEP_3)
	v_add_co_u32 v12, s2, v0, s14
	s_wait_alu 0xf1ff
	v_add_co_ci_u32_e64 v13, s2, s15, v1, s2
	v_lshlrev_b64_e32 v[6:7], 2, v[6:7]
	s_clause 0x10
	global_load_b32 v16, v[36:37], off offset:68
	global_load_b32 v17, v[36:37], off offset:168
	;; [unrolled: 1-line block ×17, first 2 shown]
	global_load_b32 v33, v[8:9], off
	global_load_b32 v34, v[0:1], off
	;; [unrolled: 1-line block ×3, first 2 shown]
	v_lshlrev_b64_e32 v[0:1], 2, v[10:11]
	s_mulk_i32 s9, 0xc8
	v_add_co_u32 v6, s2, v4, v6
	s_wait_alu 0xf1ff
	v_add_co_ci_u32_e64 v7, s2, v5, v7, s2
	s_delay_alu instid0(VALU_DEP_3)
	v_add_co_u32 v0, s2, v4, v0
	s_wait_alu 0xf1ff
	v_add_co_ci_u32_e64 v1, s2, v5, v1, s2
	v_add_co_u32 v4, s2, v12, s14
	s_wait_alu 0xf1ff
	v_add_co_ci_u32_e64 v5, s2, s15, v13, s2
	s_clause 0x1
	global_load_b32 v10, v[6:7], off
	global_load_b32 v11, v[0:1], off
	v_add_co_u32 v0, s2, v4, s14
	s_wait_alu 0xf1ff
	v_add_co_ci_u32_e64 v1, s2, s15, v5, s2
	global_load_b32 v12, v[4:5], off
	v_mad_co_u64_u32 v[4:5], null, 0xc8, s8, v[0:1]
	global_load_b32 v13, v[0:1], off
	s_wait_alu 0xfffe
	v_add_nc_u32_e32 v5, s9, v5
	v_add_co_u32 v0, s2, v4, s14
	s_wait_alu 0xf1ff
	s_delay_alu instid0(VALU_DEP_2) | instskip(NEXT) | instid1(VALU_DEP_2)
	v_add_co_ci_u32_e64 v1, s2, s15, v5, s2
	v_add_co_u32 v6, s2, v0, s14
	global_load_b32 v39, v[4:5], off
	s_wait_alu 0xf1ff
	v_add_co_ci_u32_e64 v7, s2, s15, v1, s2
	v_add_co_u32 v4, s2, v6, s14
	global_load_b32 v40, v[0:1], off
	s_wait_alu 0xf1ff
	;; [unrolled: 4-line block ×4, first 2 shown]
	v_add_co_ci_u32_e64 v7, s2, s15, v1, s2
	v_add_co_u32 v4, s2, v6, s14
	global_load_b32 v0, v[0:1], off
	global_load_b32 v1, v[6:7], off
	s_wait_alu 0xf1ff
	v_add_co_ci_u32_e64 v5, s2, s15, v7, s2
	s_delay_alu instid0(VALU_DEP_1) | instskip(NEXT) | instid1(VALU_DEP_1)
	v_mad_co_u64_u32 v[8:9], null, 0xc8, s8, v[4:5]
	v_add_nc_u32_e32 v9, s9, v9
	global_load_b32 v4, v[4:5], off
	global_load_b32 v5, v[8:9], off
	s_wait_loadcnt 0x21
	v_lshrrev_b32_e32 v52, 16, v14
	s_wait_loadcnt 0x1f
	v_lshrrev_b32_e32 v6, 16, v16
	s_wait_loadcnt 0x1e
	v_lshrrev_b32_e32 v7, 16, v17
	v_lshrrev_b32_e32 v58, 16, v15
	s_wait_loadcnt 0x1d
	v_lshrrev_b32_e32 v8, 16, v18
	s_wait_loadcnt 0x1c
	v_lshrrev_b32_e32 v9, 16, v19
	v_mul_f16_e32 v57, v6, v14
	v_mul_f16_e32 v6, v6, v52
	;; [unrolled: 1-line block ×4, first 2 shown]
	s_wait_loadcnt 0x1b
	v_lshrrev_b32_e32 v43, 16, v20
	v_fma_f16 v52, v16, v52, -v57
	v_fmac_f16_e32 v6, v16, v14
	s_wait_loadcnt 0xe
	v_lshrrev_b32_e32 v14, 16, v33
	v_fma_f16 v16, v17, v58, -v60
	v_mul_f16_e32 v57, v8, v33
	v_fmac_f16_e32 v7, v17, v15
	s_wait_loadcnt 0xd
	v_lshrrev_b32_e32 v15, 16, v34
	v_mul_f16_e32 v8, v8, v14
	v_mul_f16_e32 v17, v9, v34
	v_lshrrev_b32_e32 v44, 16, v21
	v_pack_b32_f16 v6, v6, v52
	v_fma_f16 v14, v18, v14, -v57
	v_pack_b32_f16 v7, v7, v16
	v_fmac_f16_e32 v8, v18, v33
	v_mul_f16_e32 v9, v9, v15
	v_fma_f16 v15, v19, v15, -v17
	s_wait_loadcnt 0xc
	v_lshrrev_b32_e32 v16, 16, v35
	v_mul_f16_e32 v17, v43, v35
	v_lshrrev_b32_e32 v46, 16, v23
	s_wait_loadcnt 0xb
	v_lshrrev_b32_e32 v18, 16, v10
	ds_store_2addr_b32 v72, v6, v7 offset0:17 offset1:42
	v_pack_b32_f16 v6, v8, v14
	v_fmac_f16_e32 v9, v19, v34
	v_mul_f16_e32 v7, v43, v16
	v_fma_f16 v8, v20, v16, -v17
	s_wait_loadcnt 0x9
	v_lshrrev_b32_e32 v14, 16, v12
	v_mul_f16_e32 v16, v44, v12
	v_lshrrev_b32_e32 v45, 16, v22
	v_mul_f16_e32 v17, v46, v18
	v_pack_b32_f16 v9, v9, v15
	v_mul_f16_e32 v15, v44, v14
	v_fma_f16 v14, v21, v14, -v16
	s_wait_loadcnt 0x8
	v_lshrrev_b32_e32 v16, 16, v13
	v_lshrrev_b32_e32 v56, 16, v31
	v_mul_f16_e32 v33, v46, v10
	v_lshrrev_b32_e32 v52, 16, v11
	v_fmac_f16_e32 v7, v20, v35
	v_mul_f16_e32 v20, v45, v13
	v_fmac_f16_e32 v17, v23, v10
	v_fmac_f16_e32 v15, v21, v12
	v_mul_f16_e32 v10, v45, v16
	v_lshrrev_b32_e32 v47, 16, v24
	v_fma_f16 v18, v23, v18, -v33
	v_mul_f16_e32 v19, v56, v52
	ds_store_2addr_b32 v72, v6, v9 offset0:67 offset1:92
	v_pack_b32_f16 v6, v7, v8
	v_fma_f16 v7, v22, v16, -v20
	v_pack_b32_f16 v8, v15, v14
	v_fmac_f16_e32 v10, v22, v13
	s_wait_loadcnt 0x7
	v_lshrrev_b32_e32 v9, 16, v39
	v_lshrrev_b32_e32 v48, 16, v25
	v_mul_f16_e32 v57, v56, v11
	v_fmac_f16_e32 v19, v31, v11
	v_pack_b32_f16 v11, v17, v18
	v_mul_f16_e32 v12, v47, v39
	ds_store_2addr_b32 v72, v6, v8 offset0:117 offset1:142
	v_pack_b32_f16 v6, v10, v7
	v_mul_f16_e32 v7, v47, v9
	s_wait_loadcnt 0x6
	v_lshrrev_b32_e32 v8, 16, v40
	v_lshrrev_b32_e32 v49, 16, v26
	v_fma_f16 v9, v24, v9, -v12
	v_mul_f16_e32 v10, v48, v40
	ds_store_2addr_b32 v72, v6, v11 offset0:167 offset1:192
	v_fmac_f16_e32 v7, v24, v39
	s_wait_loadcnt 0x5
	v_lshrrev_b32_e32 v11, 16, v41
	v_mul_f16_e32 v6, v48, v8
	v_fma_f16 v8, v25, v8, -v10
	v_mul_f16_e32 v10, v49, v41
	v_pack_b32_f16 v7, v7, v9
	v_mul_f16_e32 v9, v49, v11
	v_lshrrev_b32_e32 v50, 16, v27
	v_fmac_f16_e32 v6, v25, v40
	s_wait_loadcnt 0x4
	v_lshrrev_b32_e32 v12, 16, v42
	v_lshrrev_b32_e32 v51, 16, v28
	v_fma_f16 v10, v26, v11, -v10
	v_fmac_f16_e32 v9, v26, v41
	s_wait_loadcnt 0x3
	v_lshrrev_b32_e32 v13, 16, v0
	v_mul_f16_e32 v11, v50, v42
	v_pack_b32_f16 v6, v6, v8
	v_mul_f16_e32 v8, v50, v12
	v_mul_f16_e32 v14, v51, v0
	v_lshrrev_b32_e32 v53, 16, v29
	v_pack_b32_f16 v9, v9, v10
	v_mul_f16_e32 v10, v51, v13
	v_fma_f16 v11, v27, v12, -v11
	v_fmac_f16_e32 v8, v27, v42
	v_fma_f16 v12, v28, v13, -v14
	s_wait_loadcnt 0x2
	v_lshrrev_b32_e32 v13, 16, v1
	v_lshrrev_b32_e32 v55, 16, v30
	v_mul_f16_e32 v14, v53, v1
	v_fmac_f16_e32 v10, v28, v0
	s_wait_loadcnt 0x1
	v_lshrrev_b32_e32 v0, 16, v4
	v_lshrrev_b32_e32 v59, 16, v32
	v_pack_b32_f16 v8, v8, v11
	s_wait_loadcnt 0x0
	v_lshrrev_b32_e32 v11, 16, v5
	v_mul_f16_e32 v15, v53, v13
	v_fma_f16 v13, v29, v13, -v14
	v_mul_f16_e32 v14, v55, v4
	v_mul_f16_e32 v16, v55, v0
	;; [unrolled: 1-line block ×4, first 2 shown]
	v_fmac_f16_e32 v15, v29, v1
	v_fma_f16 v33, v31, v52, -v57
	v_fma_f16 v0, v30, v0, -v14
	v_fmac_f16_e32 v16, v30, v4
	v_fmac_f16_e32 v17, v32, v5
	v_fma_f16 v1, v32, v11, -v18
	v_pack_b32_f16 v4, v10, v12
	v_pack_b32_f16 v5, v15, v13
	;; [unrolled: 1-line block ×5, first 2 shown]
	ds_store_2addr_b32 v72, v7, v6 offset0:217 offset1:242
	ds_store_2addr_b32 v2, v9, v8 offset0:11 offset1:36
	;; [unrolled: 1-line block ×4, first 2 shown]
	ds_store_b32 v72, v1 offset:1668
.LBB0_3:
	s_wait_alu 0xfffe
	s_or_b32 exec_lo, exec_lo, s3
	global_wb scope:SCOPE_SE
	s_wait_storecnt_dscnt 0x0
	s_wait_kmcnt 0x0
	s_barrier_signal -1
	s_barrier_wait -1
	global_inv scope:SCOPE_SE
	ds_load_2addr_b32 v[16:17], v72 offset1:25
	ds_load_2addr_b32 v[20:21], v72 offset0:50 offset1:75
	ds_load_2addr_b32 v[24:25], v72 offset0:100 offset1:125
	;; [unrolled: 1-line block ×7, first 2 shown]
	ds_load_b32 v121, v72 offset:1600
	s_load_b64 s[0:1], s[0:1], 0x8
	v_mov_b32_e32 v0, 0
                                        ; implicit-def: $vgpr9
                                        ; implicit-def: $vgpr6
                                        ; implicit-def: $vgpr11
                                        ; implicit-def: $vgpr4
                                        ; implicit-def: $vgpr13
                                        ; implicit-def: $vgpr2
                                        ; implicit-def: $vgpr15
                                        ; implicit-def: $vgpr32
	s_and_saveexec_b32 s2, vcc_lo
	s_cbranch_execz .LBB0_5
; %bb.4:
	v_add_nc_u32_e32 v2, 0x400, v72
	ds_load_2addr_b32 v[0:1], v72 offset0:17 offset1:42
	ds_load_2addr_b32 v[14:15], v72 offset0:67 offset1:92
	;; [unrolled: 1-line block ×8, first 2 shown]
	ds_load_b32 v32, v72 offset:1668
.LBB0_5:
	s_wait_alu 0xfffe
	s_or_b32 exec_lo, exec_lo, s2
	s_wait_dscnt 0x0
	v_pk_add_f16 v111, v1, v32 neg_lo:[0,1] neg_hi:[0,1]
	v_pk_add_f16 v113, v14, v3 neg_lo:[0,1] neg_hi:[0,1]
	v_pk_add_f16 v34, v32, v1
	v_pk_add_f16 v33, v3, v14
	v_pk_add_f16 v114, v15, v2 neg_lo:[0,1] neg_hi:[0,1]
	v_lshrrev_b32_e32 v112, 16, v111
	v_lshrrev_b32_e32 v154, 16, v113
	v_pk_add_f16 v46, v2, v15
	v_pk_add_f16 v115, v12, v5 neg_lo:[0,1] neg_hi:[0,1]
	v_lshrrev_b32_e32 v120, 16, v114
	v_mul_f16_e32 v38, 0xb964, v112
	v_mul_f16_e64 v35, 0xbbf7, v154
	v_mul_f16_e32 v66, 0xbb29, v112
	v_lshrrev_b32_e32 v145, 16, v115
	v_mul_f16_e32 v58, 0x31e1, v120
	v_fmamk_f16 v39, v34, 0x39e9, v38
	v_fmamk_f16 v40, v33, 0x2de8, v35
	scratch_store_b32 off, v35, off offset:76 ; 4-byte Folded Spill
	v_mul_f16_e64 v35, 0xba62, v154
	v_pk_add_f16 v47, v5, v12
	v_add_f16_e32 v39, v39, v0
	v_pk_add_f16 v116, v13, v4 neg_lo:[0,1] neg_hi:[0,1]
	v_mul_f16_e64 v61, 0x3bb2, v145
	scratch_store_b32 off, v35, off offset:88 ; 4-byte Folded Spill
	v_fmamk_f16 v41, v33, 0xb8d2, v35
	v_add_f16_e32 v39, v40, v39
	v_fmamk_f16 v40, v34, 0x3722, v66
	v_mul_f16_e32 v35, 0xba62, v120
	v_lshrrev_b32_e32 v150, 16, v116
	v_pk_add_f16 v49, v4, v13
	v_pk_add_f16 v117, v10, v7 neg_lo:[0,1] neg_hi:[0,1]
	v_add_f16_e32 v40, v40, v0
	scratch_store_b32 off, v35, off offset:80 ; 4-byte Folded Spill
	v_mul_f16_e64 v62, 0x3964, v150
	v_pk_add_f16 v51, v7, v10
	v_lshrrev_b32_e32 v151, 16, v117
	v_add_f16_e32 v40, v41, v40
	v_fmamk_f16 v41, v46, 0xb8d2, v35
	v_mul_f16_e64 v35, 0xb1e1, v145
	v_pk_add_f16 v118, v11, v6 neg_lo:[0,1] neg_hi:[0,1]
	v_mul_f16_e64 v63, 0xb5c8, v151
	v_pk_add_f16 v57, v6, v11
	v_add_f16_e32 v39, v41, v39
	v_fmamk_f16 v41, v46, 0xbbdd, v58
	scratch_store_b32 off, v35, off offset:84 ; 4-byte Folded Spill
	v_lshrrev_b32_e32 v152, 16, v118
	v_pk_add_f16 v119, v8, v9 neg_lo:[0,1] neg_hi:[0,1]
	v_pk_add_f16 v60, v9, v8
	v_add_f16_e32 v40, v41, v40
	v_fmamk_f16 v41, v47, 0xbbdd, v35
	v_mul_f16_e64 v35, 0x3836, v150
	v_mul_f16_e64 v56, 0x3b29, v152
	v_mul_f16_e64 v64, 0xbbf7, v152
	v_lshrrev_b32_e32 v153, 16, v119
	v_add_f16_e32 v39, v41, v39
	v_fmamk_f16 v41, v47, 0xb461, v61
	scratch_store_b32 off, v35, off offset:92 ; 4-byte Folded Spill
	v_mul_f16_e64 v138, 0xbbf7, v112
	v_mul_f16_e64 v59, 0x35c8, v153
	;; [unrolled: 1-line block ×3, first 2 shown]
	v_add_f16_e32 v40, v41, v40
	v_fmamk_f16 v41, v49, 0xbacd, v35
	v_mul_f16_e64 v35, 0x3bb2, v151
	v_mul_f16_e64 v67, 0xb1e1, v154
	;; [unrolled: 1-line block ×4, first 2 shown]
	v_add_f16_e32 v39, v41, v39
	v_fmamk_f16 v41, v49, 0x39e9, v62
	v_fmamk_f16 v42, v33, 0xbbdd, v67
	v_mul_f16_e32 v68, 0x3bb2, v120
	v_fmamk_f16 v43, v33, 0xbacd, v124
	v_mul_f16_e32 v125, 0x3964, v120
	v_add_f16_e32 v40, v41, v40
	v_fmamk_f16 v41, v51, 0xb461, v35
	v_mul_f16_e64 v69, 0x35c8, v145
	v_mul_f16_e64 v126, 0xbb29, v145
	v_mul_f16_e64 v70, 0xbb29, v150
	v_mul_f16_e64 v127, 0xb1e1, v150
	v_add_f16_e32 v39, v41, v39
	v_fmamk_f16 v41, v51, 0x3b76, v63
	v_mul_f16_e64 v110, 0xb836, v151
	v_mul_f16_e64 v128, 0x3bf7, v151
	v_mul_f16_e64 v122, 0x3a62, v152
	v_mul_f16_e64 v129, 0xb5c8, v152
	;; [unrolled: 6-line block ×3, first 2 shown]
	v_add_f16_e32 v39, v41, v39
	v_fmamk_f16 v41, v57, 0x2de8, v64
	v_mul_f16_e64 v149, 0xb836, v112
	v_mul_f16_e64 v146, 0x3b29, v154
	v_fma_f16 v44, 0xb461, v33, v136
	v_mul_f16_e64 v137, 0xb5c8, v120
	v_add_f16_e32 v41, v41, v40
	v_fmamk_f16 v40, v60, 0x3b76, v59
	v_fma_f16 v131, 0x3722, v33, v146
	v_mul_f16_e64 v147, 0xbbf7, v120
	v_mul_f16_e64 v135, 0xb836, v145
	;; [unrolled: 1-line block ×3, first 2 shown]
	v_add_f16_e32 v40, v40, v39
	v_fmamk_f16 v39, v60, 0xbacd, v65
	v_mul_f16_e64 v134, 0x3bf7, v150
	v_mul_f16_e64 v142, 0xb5c8, v150
	;; [unrolled: 1-line block ×4, first 2 shown]
	v_add_f16_e32 v39, v39, v41
	v_fma_f16 v41, 0x2de8, v34, v138
	v_mul_f16_e64 v141, 0x3964, v152
	v_mul_f16_e64 v143, 0xbbb2, v153
	v_pk_add_f16 v160, v30, v29 neg_lo:[0,1] neg_hi:[0,1]
	v_pk_add_f16 v183, v31, v28 neg_lo:[0,1] neg_hi:[0,1]
	v_add_f16_e32 v41, v41, v0
	v_pk_add_f16 v221, v17, v121 neg_lo:[0,1] neg_hi:[0,1]
	v_pk_add_f16 v191, v24, v27 neg_lo:[0,1] neg_hi:[0,1]
	;; [unrolled: 1-line block ×4, first 2 shown]
	v_add_f16_e32 v41, v42, v41
	v_fma_f16 v42, 0xb461, v34, v139
	v_lshrrev_b32_e32 v159, 16, v221
	v_pk_add_f16 v161, v121, v17
	v_lshrrev_b32_e32 v228, 16, v197
	v_pk_add_f16 v196, v21, v22 neg_lo:[0,1] neg_hi:[0,1]
	v_add_f16_e32 v42, v42, v0
	v_mul_f16_e64 v162, 0xb836, v159
	v_mul_f16_e64 v181, 0xb836, v221
	;; [unrolled: 1-line block ×4, first 2 shown]
	v_add_f16_e32 v42, v43, v42
	v_fmamk_f16 v43, v46, 0xb461, v68
	v_lshrrev_b32_e32 v226, 16, v196
	v_mul_f16_e64 v179, 0xbbf7, v196
	v_lshrrev_b32_e32 v224, 16, v191
	v_mul_f16_e64 v173, 0x3a62, v191
	v_add_f16_e32 v41, v43, v41
	v_fmamk_f16 v43, v46, 0x39e9, v125
	v_mul_f16_e64 v176, 0xbbf7, v226
	v_mul_f16_e64 v171, 0x3a62, v224
	v_lshrrev_b32_e32 v220, 16, v189
	v_mul_f16_e64 v170, 0xb5c8, v189
	v_add_f16_e32 v42, v43, v42
	v_fmamk_f16 v43, v47, 0x3b76, v69
	v_lshrrev_b32_e32 v218, 16, v160
	v_mul_f16_e64 v169, 0xb5c8, v220
	v_mul_f16_e64 v168, 0xb1e1, v160
	v_lshrrev_b32_e32 v215, 16, v183
	v_add_f16_e32 v41, v43, v41
	v_fmamk_f16 v43, v47, 0x3722, v126
	v_mul_f16_e64 v167, 0xb1e1, v218
	v_mul_f16_e64 v190, 0x3964, v183
	;; [unrolled: 1-line block ×3, first 2 shown]
	global_wb scope:SCOPE_SE
	s_wait_storecnt 0x0
	v_add_f16_e32 v42, v43, v42
	v_fmamk_f16 v43, v49, 0x3722, v70
	s_wait_kmcnt 0x0
	s_barrier_signal -1
	s_barrier_wait -1
	global_inv scope:SCOPE_SE
	v_mul_f16_e64 v166, 0xbb29, v159
	v_add_f16_e32 v41, v43, v41
	v_fmamk_f16 v43, v49, 0xbbdd, v127
	v_mul_f16_e64 v187, 0xba62, v196
	v_mul_f16_e64 v195, 0xb1e1, v191
	v_fma_f16 v172, v161, 0x3722, -v166
	v_fmac_f16_e64 v166, 0x3722, v161
	v_add_f16_e32 v42, v43, v42
	v_fmamk_f16 v43, v51, 0xbacd, v110
	v_mul_f16_e64 v200, 0x3836, v189
	v_add_f16_e64 v213, v16, v172
	v_mul_f16_e64 v172, 0xbbb2, v159
	v_mul_f16_e64 v203, 0x3bb2, v160
	v_add_f16_e32 v41, v43, v41
	v_fma_f16 v43, 0x2de8, v51, v128
	v_mul_f16_e64 v205, 0x3b29, v183
	v_fma_f16 v177, v161, 0xb461, -v172
	v_fmac_f16_e64 v172, 0xb461, v161
	v_mul_f16_e64 v216, 0xbb29, v221
	v_add_f16_e32 v42, v43, v42
	v_fmamk_f16 v43, v57, 0xb8d2, v122
	v_add_f16_e64 v237, v16, v177
	v_add_f16_e64 v210, v16, v172
	v_mul_f16_e64 v177, 0xbbf7, v197
	v_mul_f16_e64 v244, 0xb1e1, v228
	v_add_f16_e32 v41, v43, v41
	v_fma_f16 v43, 0x3b76, v57, v129
	v_mul_f16_e64 v245, 0xbbf7, v221
	v_mul_f16_e64 v246, 0xb1e1, v197
	;; [unrolled: 1-line block ×4, first 2 shown]
	v_add_f16_e32 v43, v43, v42
	v_fmamk_f16 v42, v60, 0x39e9, v123
	v_mul_f16_e64 v249, 0x35c8, v224
	v_mul_f16_e64 v250, 0x35c8, v191
	;; [unrolled: 1-line block ×4, first 2 shown]
	v_add_f16_e32 v42, v42, v41
	v_fma_f16 v41, 0xb8d2, v60, v130
	v_mul_f16_e64 v76, 0x3a62, v215
	v_mul_f16_e64 v77, 0x3a62, v183
	v_mov_b32_e32 v75, v35
	v_mul_f16_e64 v152, 0xb836, v152
	v_add_f16_e32 v41, v41, v43
	v_fma_f16 v43, 0xb8d2, v34, v148
	s_delay_alu instid0(VALU_DEP_1) | instskip(NEXT) | instid1(VALU_DEP_1)
	v_add_f16_e32 v43, v43, v0
	v_add_f16_e32 v43, v44, v43
	v_fma_f16 v44, 0xbacd, v34, v149
	s_delay_alu instid0(VALU_DEP_1) | instskip(NEXT) | instid1(VALU_DEP_1)
	v_add_f16_e32 v44, v44, v0
	v_add_f16_e64 v44, v131, v44
	v_fma_f16 v131, 0x3b76, v46, v137
	s_delay_alu instid0(VALU_DEP_1) | instskip(SKIP_1) | instid1(VALU_DEP_1)
	v_add_f16_e64 v43, v131, v43
	v_fma_f16 v131, 0x2de8, v46, v147
	v_add_f16_e64 v44, v131, v44
	v_fma_f16 v131, 0xbacd, v47, v135
	s_delay_alu instid0(VALU_DEP_1) | instskip(SKIP_1) | instid1(VALU_DEP_1)
	v_add_f16_e64 v43, v131, v43
	v_fma_f16 v131, 0xb8d2, v47, v144
	v_add_f16_e64 v44, v131, v44
	v_fma_f16 v131, 0x2de8, v49, v134
	s_delay_alu instid0(VALU_DEP_1) | instskip(SKIP_1) | instid1(VALU_DEP_1)
	v_add_f16_e64 v43, v131, v43
	v_fma_f16 v131, 0x3b76, v49, v142
	v_add_f16_e64 v44, v131, v44
	v_mul_f16_e64 v131, 0xb964, v151
	v_mul_f16_e64 v151, 0xba62, v151
	s_delay_alu instid0(VALU_DEP_2) | instskip(NEXT) | instid1(VALU_DEP_1)
	v_fma_f16 v132, 0x39e9, v51, v131
	v_add_f16_e64 v43, v132, v43
	v_fma_f16 v132, 0xbbdd, v51, v140
	s_delay_alu instid0(VALU_DEP_1) | instskip(SKIP_1) | instid1(VALU_DEP_1)
	v_add_f16_e64 v44, v132, v44
	v_fma_f16 v132, 0xbbdd, v57, v133
	v_add_f16_e64 v43, v132, v43
	v_fma_f16 v132, 0x39e9, v57, v141
	s_delay_alu instid0(VALU_DEP_1) | instskip(SKIP_2) | instid1(VALU_DEP_2)
	v_add_f16_e64 v155, v132, v44
	v_mul_f16_e64 v132, 0x3b29, v153
	v_mul_f16_e64 v153, 0xb1e1, v153
	v_fma_f16 v44, 0x3722, v60, v132
	s_delay_alu instid0(VALU_DEP_1) | instskip(SKIP_1) | instid1(VALU_DEP_1)
	v_add_f16_e32 v44, v44, v43
	v_fma_f16 v43, 0xb461, v60, v143
	v_add_f16_e64 v43, v43, v155
	v_pk_add_f16 v155, v16, v17
	v_fma_f16 v17, v161, 0xbacd, -v162
	v_fmac_f16_e64 v162, 0xbacd, v161
	s_delay_alu instid0(VALU_DEP_3) | instskip(NEXT) | instid1(VALU_DEP_3)
	v_pk_add_f16 v155, v155, v20
	v_add_f16_e32 v17, v16, v17
	s_delay_alu instid0(VALU_DEP_3) | instskip(NEXT) | instid1(VALU_DEP_3)
	v_add_f16_e64 v235, v16, v162
	v_pk_add_f16 v155, v155, v21
	s_delay_alu instid0(VALU_DEP_1) | instskip(NEXT) | instid1(VALU_DEP_1)
	v_pk_add_f16 v155, v155, v24
	v_pk_add_f16 v155, v155, v25
	s_delay_alu instid0(VALU_DEP_1) | instskip(NEXT) | instid1(VALU_DEP_1)
	v_pk_add_f16 v155, v155, v30
	v_pk_add_f16 v156, v155, v31
	;; [unrolled: 1-line block ×4, first 2 shown]
	s_delay_alu instid0(VALU_DEP_3) | instskip(NEXT) | instid1(VALU_DEP_3)
	v_pk_add_f16 v31, v156, v18
	v_pk_mul_f16 v201, 0xb8d2b461, v155
	s_delay_alu instid0(VALU_DEP_2) | instskip(NEXT) | instid1(VALU_DEP_2)
	v_pk_add_f16 v31, v31, v19
	v_pk_fma_f16 v202, 0x3bb2ba62, v160, v201 op_sel:[0,0,1] op_sel_hi:[1,1,0]
	s_delay_alu instid0(VALU_DEP_2) | instskip(NEXT) | instid1(VALU_DEP_1)
	v_pk_add_f16 v28, v31, v28
	v_pk_add_f16 v29, v28, v29
	;; [unrolled: 1-line block ×4, first 2 shown]
	s_delay_alu instid0(VALU_DEP_3) | instskip(NEXT) | instid1(VALU_DEP_2)
	v_pk_add_f16 v25, v29, v26
	v_pk_mul_f16 v194, 0xb461bacd, v24
	s_delay_alu instid0(VALU_DEP_2) | instskip(SKIP_2) | instid1(VALU_DEP_4)
	v_pk_add_f16 v26, v25, v27
	v_pk_add_f16 v25, v23, v20
	;; [unrolled: 1-line block ×3, first 2 shown]
	v_pk_fma_f16 v198, 0x3836bbb2, v189, v194 op_sel:[0,0,1] op_sel_hi:[1,1,0]
	s_delay_alu instid0(VALU_DEP_4) | instskip(NEXT) | instid1(VALU_DEP_1)
	v_pk_add_f16 v21, v26, v22
	v_pk_add_f16 v157, v21, v23
	v_fma_f16 v21, v25, 0x3722, -v180
	v_fmac_f16_e64 v180, 0x3722, v25
	s_delay_alu instid0(VALU_DEP_3) | instskip(NEXT) | instid1(VALU_DEP_3)
	v_pk_add_f16 v157, v157, v121
	v_add_f16_e32 v23, v21, v17
	v_lshrrev_b32_e32 v21, 16, v161
	v_lshrrev_b32_e32 v17, 16, v16
	v_mul_lo_u16 v121, v101, 17
	s_delay_alu instid0(VALU_DEP_3) | instskip(NEXT) | instid1(VALU_DEP_2)
	v_fma_f16 v22, 0xbacd, v21, v181
	v_and_b32_e32 v121, 0xffff, v121
	s_delay_alu instid0(VALU_DEP_2) | instskip(SKIP_1) | instid1(VALU_DEP_3)
	v_add_f16_e32 v26, v17, v22
	v_lshrrev_b32_e32 v22, 16, v25
	v_lshl_add_u32 v121, v121, 2, v74
	s_delay_alu instid0(VALU_DEP_2) | instskip(SKIP_1) | instid1(VALU_DEP_2)
	v_fma_f16 v27, 0x3722, v22, v182
	v_fma_f16 v223, 0xbbdd, v22, v246
	v_add_f16_e32 v26, v27, v26
	v_fma_f16 v27, v20, 0x2de8, -v176
	v_fmac_f16_e64 v176, 0x2de8, v20
	s_delay_alu instid0(VALU_DEP_2) | instskip(SKIP_1) | instid1(VALU_DEP_1)
	v_add_f16_e32 v27, v27, v23
	v_lshrrev_b32_e32 v23, 16, v20
	v_fma_f16 v29, 0x2de8, v23, v179
	s_delay_alu instid0(VALU_DEP_1) | instskip(SKIP_2) | instid1(VALU_DEP_2)
	v_add_f16_e32 v29, v29, v26
	v_fma_f16 v26, v28, 0xb8d2, -v171
	v_fmac_f16_e64 v171, 0xb8d2, v28
	v_add_f16_e32 v27, v26, v27
	v_lshrrev_b32_e32 v26, 16, v28
	s_delay_alu instid0(VALU_DEP_1) | instskip(NEXT) | instid1(VALU_DEP_1)
	v_fma_f16 v31, 0xb8d2, v26, v173
	v_add_f16_e32 v29, v31, v29
	v_fma_f16 v31, v24, 0x3b76, -v169
	v_fmac_f16_e64 v169, 0x3b76, v24
	s_delay_alu instid0(VALU_DEP_2) | instskip(SKIP_1) | instid1(VALU_DEP_1)
	v_add_f16_e32 v31, v31, v27
	v_lshrrev_b32_e32 v27, 16, v24
	v_fma_f16 v156, 0x3b76, v27, v170
	s_delay_alu instid0(VALU_DEP_1) | instskip(SKIP_2) | instid1(VALU_DEP_2)
	v_add_f16_e64 v156, v156, v29
	v_fma_f16 v29, v155, 0xbbdd, -v167
	v_fmac_f16_e64 v167, 0xbbdd, v155
	v_add_f16_e32 v31, v29, v31
	v_lshrrev_b32_e32 v29, 16, v155
	s_delay_alu instid0(VALU_DEP_1) | instskip(NEXT) | instid1(VALU_DEP_1)
	v_fma_f16 v158, 0xbbdd, v29, v168
	v_add_f16_e64 v156, v158, v156
	v_fma_f16 v158, v30, 0x39e9, -v188
	v_fmac_f16_e64 v188, 0x39e9, v30
	s_delay_alu instid0(VALU_DEP_2) | instskip(SKIP_1) | instid1(VALU_DEP_1)
	v_add_f16_e64 v158, v158, v31
	v_lshrrev_b32_e32 v31, 16, v30
	v_fma_f16 v163, 0x39e9, v31, v190
	s_delay_alu instid0(VALU_DEP_1) | instskip(SKIP_2) | instid1(VALU_DEP_2)
	v_add_f16_e64 v163, v163, v156
	v_pk_add_f16 v156, v18, v19 neg_lo:[0,1] neg_hi:[0,1]
	v_pk_add_f16 v18, v19, v18
	v_lshrrev_b32_e32 v234, 16, v156
	v_mul_f16_e64 v208, 0xbbb2, v156
	s_delay_alu instid0(VALU_DEP_3) | instskip(SKIP_1) | instid1(VALU_DEP_4)
	v_pk_mul_f16 v209, 0xbbdd3b76, v18
	v_mul_f16_e64 v84, 0x3964, v156
	v_mul_f16_e64 v206, 0xbbb2, v234
	s_delay_alu instid0(VALU_DEP_1) | instskip(SKIP_1) | instid1(VALU_DEP_2)
	v_fma_f16 v19, v18, 0xb461, -v206
	v_fmac_f16_e64 v206, 0xb461, v18
	v_add_f16_e64 v158, v19, v158
	v_lshrrev_b32_e32 v19, 16, v18
	s_delay_alu instid0(VALU_DEP_1) | instskip(NEXT) | instid1(VALU_DEP_1)
	v_fma_f16 v164, 0xb461, v19, v208
	v_add_f16_e64 v163, v164, v163
	s_delay_alu instid0(VALU_DEP_1) | instskip(SKIP_3) | instid1(VALU_DEP_1)
	v_pack_b32_f16 v158, v158, v163
	v_pk_mul_f16 v163, 0x3b7639e9, v161
	ds_store_2addr_b32 v121, v157, v158 offset1:7
	v_mul_f16_e64 v157, 0xb5c8, v159
	v_fma_f16 v158, v161, 0x3b76, -v157
	v_fmac_f16_e64 v157, 0x3b76, v161
	s_delay_alu instid0(VALU_DEP_2) | instskip(SKIP_2) | instid1(VALU_DEP_4)
	v_add_f16_e64 v165, v16, v158
	v_pk_fma_f16 v158, 0xb964b5c8, v221, v163 op_sel:[0,0,1] op_sel_hi:[1,1,0] neg_lo:[0,1,0] neg_hi:[0,1,0]
	v_pk_fma_f16 v163, 0xb964b5c8, v221, v163 op_sel:[0,0,1] op_sel_hi:[1,1,0]
	v_add_f16_e64 v157, v16, v157
	s_delay_alu instid0(VALU_DEP_2) | instskip(NEXT) | instid1(VALU_DEP_1)
	v_bfi_b32 v164, 0xffff, v163, v158
	v_pk_add_f16 v174, v16, v164 op_sel:[1,0] op_sel_hi:[0,1]
	v_pk_add_f16 v164, v16, v163 op_sel:[1,0] op_sel_hi:[0,1]
	v_add_f16_e64 v163, v16, v166
	v_mul_f16_e64 v166, 0xbbf7, v159
	v_mul_f16_e64 v159, 0xba62, v159
	s_delay_alu instid0(VALU_DEP_2) | instskip(SKIP_1) | instid1(VALU_DEP_3)
	v_fma_f16 v175, v161, 0x2de8, -v166
	v_fmac_f16_e64 v166, 0x2de8, v161
	v_fma_f16 v178, v161, 0xb8d2, -v159
	v_fmac_f16_e64 v159, 0xb8d2, v161
	v_pk_mul_f16 v161, 0xbbdd, v161 op_sel_hi:[0,1]
	v_add_f16_e64 v217, v16, v175
	v_add_f16_e64 v211, v16, v166
	;; [unrolled: 1-line block ×4, first 2 shown]
	v_pk_fma_f16 v166, 0xb1e1, v221, v161 op_sel:[0,0,1] op_sel_hi:[0,1,0] neg_lo:[0,1,0] neg_hi:[0,1,0]
	v_pk_fma_f16 v161, 0xb1e1, v221, v161 op_sel:[0,0,1] op_sel_hi:[0,1,0]
	v_mul_f16_e64 v159, 0xb964, v228
	v_mul_f16_e64 v178, 0xb964, v221
	s_delay_alu instid0(VALU_DEP_4) | instskip(NEXT) | instid1(VALU_DEP_4)
	v_pk_add_f16 v239, v16, v166 op_sel:[1,0] op_sel_hi:[0,1]
	v_pk_add_f16 v240, v16, v161 op_sel:[1,0] op_sel_hi:[0,1]
	s_delay_alu instid0(VALU_DEP_4) | instskip(SKIP_3) | instid1(VALU_DEP_4)
	v_fma_f16 v16, v25, 0x39e9, -v159
	v_pk_mul_f16 v161, 0x39e92de8, v25
	v_fma_f16 v166, 0x2de8, v22, v177
	v_fmac_f16_e64 v159, 0x39e9, v25
	v_add_f16_e64 v162, v16, v165
	s_delay_alu instid0(VALU_DEP_4) | instskip(SKIP_1) | instid1(VALU_DEP_1)
	v_pk_fma_f16 v16, 0xbbf7b964, v197, v161 op_sel:[0,0,1] op_sel_hi:[1,1,0] neg_lo:[0,1,0] neg_hi:[0,1,0]
	v_pk_fma_f16 v175, 0xbbf7b964, v197, v161 op_sel:[0,0,1] op_sel_hi:[1,1,0]
	v_bfi_b32 v161, 0xffff, v175, v16
	s_delay_alu instid0(VALU_DEP_1) | instskip(SKIP_2) | instid1(VALU_DEP_2)
	v_pk_add_f16 v165, v161, v174
	v_fma_f16 v161, 0x39e9, v21, v178
	v_pk_mul_f16 v174, 0x3722b8d2, v20
	v_add_f16_e64 v161, v17, v161
	s_delay_alu instid0(VALU_DEP_2) | instskip(NEXT) | instid1(VALU_DEP_2)
	v_pk_fma_f16 v186, 0xba62bb29, v196, v174 op_sel:[0,0,1] op_sel_hi:[1,1,0]
	v_add_f16_e64 v166, v166, v161
	v_mul_f16_e64 v161, 0xbb29, v226
	s_delay_alu instid0(VALU_DEP_1) | instskip(SKIP_1) | instid1(VALU_DEP_2)
	v_fma_f16 v172, v20, 0x3722, -v161
	v_fmac_f16_e64 v161, 0x3722, v20
	v_add_f16_e64 v172, v172, v162
	v_pk_fma_f16 v162, 0xba62bb29, v196, v174 op_sel:[0,0,1] op_sel_hi:[1,1,0] neg_lo:[0,1,0] neg_hi:[0,1,0]
	s_delay_alu instid0(VALU_DEP_1) | instskip(NEXT) | instid1(VALU_DEP_1)
	v_bfi_b32 v174, 0xffff, v186, v162
	v_pk_add_f16 v174, v174, v165
	v_fma_f16 v165, 0xb8d2, v23, v187
	s_delay_alu instid0(VALU_DEP_1) | instskip(SKIP_1) | instid1(VALU_DEP_1)
	v_add_f16_e64 v184, v165, v166
	v_mul_f16_e64 v165, 0xbbf7, v224
	v_fma_f16 v166, v28, 0x2de8, -v165
	v_fmac_f16_e64 v165, 0x2de8, v28
	s_delay_alu instid0(VALU_DEP_2) | instskip(SKIP_1) | instid1(VALU_DEP_1)
	v_add_f16_e64 v185, v166, v172
	v_pk_mul_f16 v172, 0x2de8bbdd, v28
	v_pk_fma_f16 v166, 0xb1e1bbf7, v191, v172 op_sel:[0,0,1] op_sel_hi:[1,1,0] neg_lo:[0,1,0] neg_hi:[0,1,0]
	v_pk_fma_f16 v193, 0xb1e1bbf7, v191, v172 op_sel:[0,0,1] op_sel_hi:[1,1,0]
	s_delay_alu instid0(VALU_DEP_1) | instskip(NEXT) | instid1(VALU_DEP_1)
	v_bfi_b32 v172, 0xffff, v193, v166
	v_pk_add_f16 v192, v172, v174
	v_fma_f16 v172, 0xbbdd, v26, v195
	s_delay_alu instid0(VALU_DEP_1) | instskip(SKIP_1) | instid1(VALU_DEP_1)
	v_add_f16_e64 v184, v172, v184
	v_mul_f16_e64 v172, 0xbbb2, v220
	v_fma_f16 v174, v24, 0xb461, -v172
	v_fmac_f16_e64 v172, 0xb461, v24
	s_delay_alu instid0(VALU_DEP_2) | instskip(SKIP_1) | instid1(VALU_DEP_1)
	v_add_f16_e64 v185, v174, v185
	v_pk_fma_f16 v174, 0x3836bbb2, v189, v194 op_sel:[0,0,1] op_sel_hi:[1,1,0] neg_lo:[0,1,0] neg_hi:[0,1,0]
	v_bfi_b32 v194, 0xffff, v198, v174
	s_delay_alu instid0(VALU_DEP_1) | instskip(SKIP_1) | instid1(VALU_DEP_1)
	v_pk_add_f16 v192, v194, v192
	v_fma_f16 v194, 0xbacd, v27, v200
	v_add_f16_e64 v194, v194, v184
	v_mul_f16_e64 v184, 0xba62, v218
	s_delay_alu instid0(VALU_DEP_1) | instskip(SKIP_1) | instid1(VALU_DEP_2)
	v_fma_f16 v199, v155, 0xb8d2, -v184
	v_fmac_f16_e64 v184, 0xb8d2, v155
	v_add_f16_e64 v199, v199, v185
	v_pk_fma_f16 v185, 0x3bb2ba62, v160, v201 op_sel:[0,0,1] op_sel_hi:[1,1,0] neg_lo:[0,1,0] neg_hi:[0,1,0]
	s_delay_alu instid0(VALU_DEP_1) | instskip(NEXT) | instid1(VALU_DEP_1)
	v_bfi_b32 v201, 0xffff, v202, v185
	v_pk_add_f16 v201, v201, v192
	v_fma_f16 v192, 0xb461, v29, v203
	s_delay_alu instid0(VALU_DEP_1) | instskip(SKIP_1) | instid1(VALU_DEP_1)
	v_add_f16_e64 v207, v192, v194
	v_mul_f16_e64 v192, 0xb836, v215
	v_fma_f16 v194, v30, 0xbacd, -v192
	v_fmac_f16_e64 v192, 0xbacd, v30
	s_delay_alu instid0(VALU_DEP_2) | instskip(SKIP_1) | instid1(VALU_DEP_1)
	v_add_f16_e64 v212, v194, v199
	v_pk_mul_f16 v199, 0xbacd3722, v30
	v_pk_fma_f16 v194, 0x3b29b836, v183, v199 op_sel:[0,0,1] op_sel_hi:[1,1,0] neg_lo:[0,1,0] neg_hi:[0,1,0]
	v_pk_fma_f16 v204, 0x3b29b836, v183, v199 op_sel:[0,0,1] op_sel_hi:[1,1,0]
	s_delay_alu instid0(VALU_DEP_1) | instskip(NEXT) | instid1(VALU_DEP_1)
	v_bfi_b32 v199, 0xffff, v204, v194
	v_pk_add_f16 v201, v199, v201
	v_fma_f16 v199, 0x3722, v31, v205
	s_delay_alu instid0(VALU_DEP_1) | instskip(SKIP_2) | instid1(VALU_DEP_1)
	v_add_f16_e64 v214, v199, v207
	v_pk_fma_f16 v199, 0x35c8b1e1, v156, v209 op_sel:[0,0,1] op_sel_hi:[1,1,0] neg_lo:[0,1,0] neg_hi:[0,1,0]
	v_pk_fma_f16 v207, 0x35c8b1e1, v156, v209 op_sel:[0,0,1] op_sel_hi:[1,1,0]
	v_bfi_b32 v207, 0xffff, v207, v199
	s_delay_alu instid0(VALU_DEP_1) | instskip(SKIP_1) | instid1(VALU_DEP_1)
	v_pk_add_f16 v241, v207, v201
	v_mul_f16_e64 v207, 0x35c8, v156
	v_fma_f16 v201, 0x3b76, v19, v207
	s_delay_alu instid0(VALU_DEP_1) | instskip(SKIP_1) | instid1(VALU_DEP_1)
	v_add_f16_e64 v242, v201, v214
	v_mul_f16_e64 v201, 0xb1e1, v234
	v_fma_f16 v214, v18, 0xbbdd, -v201
	v_fmac_f16_e64 v201, 0xbbdd, v18
	s_delay_alu instid0(VALU_DEP_2) | instskip(SKIP_1) | instid1(VALU_DEP_1)
	v_add_f16_e64 v243, v214, v212
	v_mul_f16_e64 v212, 0xba62, v228
	v_fma_f16 v214, v25, 0xb8d2, -v212
	v_fmac_f16_e64 v212, 0xb8d2, v25
	s_delay_alu instid0(VALU_DEP_2) | instskip(SKIP_2) | instid1(VALU_DEP_2)
	v_add_f16_e64 v219, v214, v213
	v_fma_f16 v213, 0x3722, v21, v216
	v_mul_f16_e64 v214, 0xba62, v197
	v_add_f16_e64 v213, v17, v213
	s_delay_alu instid0(VALU_DEP_2) | instskip(NEXT) | instid1(VALU_DEP_1)
	v_fma_f16 v222, 0xb8d2, v22, v214
	v_add_f16_e64 v222, v222, v213
	v_fma_f16 v213, v25, 0xbbdd, -v244
	v_fmac_f16_e64 v244, 0xbbdd, v25
	s_delay_alu instid0(VALU_DEP_2) | instskip(SKIP_1) | instid1(VALU_DEP_1)
	v_add_f16_e64 v217, v213, v217
	v_fma_f16 v213, 0x2de8, v21, v245
	v_add_f16_e64 v213, v17, v213
	s_delay_alu instid0(VALU_DEP_1) | instskip(SKIP_1) | instid1(VALU_DEP_1)
	v_add_f16_e64 v225, v223, v213
	v_mul_f16_e64 v213, 0x31e1, v226
	v_fma_f16 v223, v20, 0xbbdd, -v213
	v_fmac_f16_e64 v213, 0xbbdd, v20
	s_delay_alu instid0(VALU_DEP_2) | instskip(SKIP_1) | instid1(VALU_DEP_1)
	v_add_f16_e64 v219, v223, v219
	v_mul_f16_e64 v223, 0x31e1, v196
	v_fma_f16 v227, 0xbbdd, v23, v223
	s_delay_alu instid0(VALU_DEP_1) | instskip(SKIP_2) | instid1(VALU_DEP_2)
	v_add_f16_e64 v222, v227, v222
	v_fma_f16 v227, v20, 0xb461, -v247
	v_fmac_f16_e64 v247, 0xb461, v20
	v_add_f16_e64 v229, v227, v217
	v_fma_f16 v217, 0xb461, v23, v248
	s_delay_alu instid0(VALU_DEP_1) | instskip(SKIP_1) | instid1(VALU_DEP_1)
	v_add_f16_e64 v225, v217, v225
	v_mul_f16_e64 v217, 0x3bb2, v224
	v_fma_f16 v227, v28, 0xb461, -v217
	v_fmac_f16_e64 v217, 0xb461, v28
	s_delay_alu instid0(VALU_DEP_2) | instskip(SKIP_1) | instid1(VALU_DEP_1)
	v_add_f16_e64 v219, v227, v219
	v_mul_f16_e64 v227, 0x3bb2, v191
	v_fma_f16 v230, 0xb461, v26, v227
	s_delay_alu instid0(VALU_DEP_1) | instskip(SKIP_2) | instid1(VALU_DEP_2)
	v_add_f16_e64 v230, v230, v222
	v_fma_f16 v222, v28, 0x3b76, -v249
	v_fmac_f16_e64 v249, 0x3b76, v28
	v_add_f16_e64 v231, v222, v229
	v_fma_f16 v222, 0x3b76, v26, v250
	;; [unrolled: 15-line block ×3, first 2 shown]
	s_delay_alu instid0(VALU_DEP_1) | instskip(SKIP_1) | instid1(VALU_DEP_1)
	v_add_f16_e64 v225, v219, v225
	v_mul_f16_e64 v219, 0xb5c8, v218
	v_fma_f16 v231, v155, 0x3b76, -v219
	v_fmac_f16_e64 v219, 0x3b76, v155
	s_delay_alu instid0(VALU_DEP_2) | instskip(SKIP_1) | instid1(VALU_DEP_1)
	v_add_f16_e64 v232, v231, v232
	v_mul_f16_e64 v231, 0xb5c8, v160
	v_fma_f16 v253, 0x3b76, v29, v231
	s_delay_alu instid0(VALU_DEP_1) | instskip(SKIP_1) | instid1(VALU_DEP_1)
	v_add_f16_e64 v230, v253, v230
	v_mul_f16_e64 v253, 0xb836, v218
	v_fma_f16 v254, v155, 0xbacd, -v253
	v_fmac_f16_e64 v253, 0xbacd, v155
	s_delay_alu instid0(VALU_DEP_2) | instskip(SKIP_1) | instid1(VALU_DEP_1)
	v_add_f16_e64 v233, v254, v233
	v_mul_f16_e64 v254, 0xb836, v160
	v_fma_f16 v255, 0xbacd, v29, v254
	;; [unrolled: 9-line block ×3, first 2 shown]
	s_delay_alu instid0(VALU_DEP_1) | instskip(SKIP_2) | instid1(VALU_DEP_2)
	v_add_f16_e64 v73, v73, v230
	v_fma_f16 v230, v30, 0xb8d2, -v76
	v_fmac_f16_e32 v76, 0xb8d2, v30
	v_add_f16_e64 v233, v230, v233
	v_fma_f16 v230, 0xb8d2, v31, v77
	s_delay_alu instid0(VALU_DEP_1) | instskip(SKIP_1) | instid1(VALU_DEP_1)
	v_add_f16_e64 v255, v230, v255
	v_mul_f16_e64 v230, 0xb836, v234
	v_fma_f16 v79, v18, 0xbacd, -v230
	v_fmac_f16_e64 v230, 0xbacd, v18
	s_delay_alu instid0(VALU_DEP_2) | instskip(SKIP_1) | instid1(VALU_DEP_1)
	v_add_f16_e32 v71, v79, v71
	v_mul_f16_e64 v79, 0x3964, v234
	v_fma_f16 v81, v18, 0x39e9, -v79
	v_fmac_f16_e32 v79, 0x39e9, v18
	s_delay_alu instid0(VALU_DEP_2) | instskip(SKIP_1) | instid1(VALU_DEP_1)
	v_add_f16_e64 v81, v81, v233
	v_fma_f16 v233, 0x39e9, v19, v84
	v_add_f16_e64 v255, v233, v255
	v_mul_f16_e64 v233, 0xbacd, v19
	s_delay_alu instid0(VALU_DEP_2) | instskip(NEXT) | instid1(VALU_DEP_2)
	v_pack_b32_f16 v81, v81, v255
	v_fma_f16 v86, 0xb836, v156, v233
	v_mul_f16_e64 v255, 0x3bb2, v197
	s_delay_alu instid0(VALU_DEP_2)
	v_add_f16_e32 v73, v86, v73
	v_alignbit_b32 v86, v242, v241, 16
	v_pack_b32_f16 v241, v243, v241
	v_mul_f16_e64 v242, 0x3836, v197
	v_fma_f16 v88, 0xb461, v22, v255
	v_pack_b32_f16 v71, v71, v73
	v_mul_f16_e64 v73, 0x3836, v228
	ds_store_2addr_b32 v121, v241, v86 offset0:1 offset1:2
	v_fma_f16 v243, 0xbacd, v22, v242
	v_mul_f16_e64 v228, 0x3bb2, v228
	ds_store_2addr_b32 v121, v71, v81 offset0:3 offset1:4
	v_fma_f16 v86, v25, 0xbacd, -v73
	v_pk_mul_f16 v71, 0xbacd, v20 op_sel_hi:[0,1]
	v_fmac_f16_e32 v73, 0xbacd, v25
	s_delay_alu instid0(VALU_DEP_3) | instskip(SKIP_4) | instid1(VALU_DEP_4)
	v_add_f16_e64 v86, v86, v237
	v_mul_f16_e64 v237, 0xbbb2, v221
	v_mul_f16_e64 v221, 0xba62, v221
	v_pk_fma_f16 v81, 0xb836, v196, v71 op_sel:[0,0,1] op_sel_hi:[0,1,0] neg_lo:[0,1,0] neg_hi:[0,1,0]
	v_pk_fma_f16 v71, 0xb836, v196, v71 op_sel:[0,0,1] op_sel_hi:[0,1,0]
	v_fma_f16 v241, 0xb461, v21, v237
	s_delay_alu instid0(VALU_DEP_1) | instskip(NEXT) | instid1(VALU_DEP_1)
	v_add_f16_e64 v241, v17, v241
	v_add_f16_e64 v241, v243, v241
	v_fma_f16 v243, v25, 0xb461, -v228
	v_fmac_f16_e64 v228, 0xb461, v25
	s_delay_alu instid0(VALU_DEP_2) | instskip(SKIP_1) | instid1(VALU_DEP_1)
	v_add_f16_e64 v238, v243, v238
	v_fma_f16 v243, 0xb8d2, v21, v221
	v_add_f16_e64 v243, v17, v243
	s_delay_alu instid0(VALU_DEP_1) | instskip(SKIP_2) | instid1(VALU_DEP_2)
	v_add_f16_e64 v88, v88, v243
	v_mul_f16_e64 v243, 0x3964, v226
	v_mul_f16_e64 v226, 0xb5c8, v226
	v_fma_f16 v90, v20, 0x39e9, -v243
	v_fmac_f16_e64 v243, 0x39e9, v20
	s_delay_alu instid0(VALU_DEP_2) | instskip(SKIP_1) | instid1(VALU_DEP_1)
	v_add_f16_e32 v86, v90, v86
	v_mul_f16_e64 v90, 0x3964, v196
	v_fmamk_f16 v92, v23, 0x39e9, v90
	s_delay_alu instid0(VALU_DEP_1) | instskip(SKIP_2) | instid1(VALU_DEP_2)
	v_add_f16_e64 v92, v92, v241
	v_fma_f16 v241, v20, 0x3b76, -v226
	v_fmac_f16_e64 v226, 0x3b76, v20
	v_add_f16_e64 v238, v241, v238
	v_mul_f16_e64 v241, 0xb5c8, v196
	v_mul_f16_e64 v196, 0xb5c8, v114
	s_delay_alu instid0(VALU_DEP_2) | instskip(NEXT) | instid1(VALU_DEP_1)
	v_fma_f16 v94, 0x3b76, v23, v241
	v_add_f16_e32 v88, v94, v88
	v_mul_f16_e64 v94, 0xbb29, v224
	s_delay_alu instid0(VALU_DEP_1) | instskip(SKIP_1) | instid1(VALU_DEP_2)
	v_fma_f16 v96, v28, 0x3722, -v94
	v_fmac_f16_e32 v94, 0x3722, v28
	v_add_f16_e32 v86, v96, v86
	v_mul_f16_e64 v96, 0xbb29, v191
	s_delay_alu instid0(VALU_DEP_1) | instskip(NEXT) | instid1(VALU_DEP_1)
	v_fmamk_f16 v98, v26, 0x3722, v96
	v_add_f16_e32 v92, v98, v92
	v_mul_f16_e64 v98, 0xb836, v224
	s_delay_alu instid0(VALU_DEP_1) | instskip(SKIP_1) | instid1(VALU_DEP_2)
	v_fma_f16 v224, v28, 0xbacd, -v98
	v_fmac_f16_e32 v98, 0xbacd, v28
	v_add_f16_e64 v224, v224, v238
	v_mul_f16_e64 v238, 0xb836, v191
	s_delay_alu instid0(VALU_DEP_1) | instskip(NEXT) | instid1(VALU_DEP_1)
	v_fma_f16 v100, 0xbacd, v26, v238
	v_add_f16_e32 v88, v100, v88
	v_mul_f16_e64 v100, 0xb1e1, v220
	s_delay_alu instid0(VALU_DEP_1) | instskip(SKIP_1) | instid1(VALU_DEP_2)
	v_fma_f16 v104, v24, 0xbbdd, -v100
	v_fmac_f16_e32 v100, 0xbbdd, v24
	v_add_f16_e32 v86, v104, v86
	v_mul_f16_e64 v104, 0xb1e1, v189
	s_delay_alu instid0(VALU_DEP_1) | instskip(NEXT) | instid1(VALU_DEP_1)
	v_fmamk_f16 v106, v27, 0xbbdd, v104
	v_add_f16_e32 v92, v106, v92
	v_mul_f16_e64 v106, 0x3bf7, v220
	s_delay_alu instid0(VALU_DEP_1) | instskip(SKIP_1) | instid1(VALU_DEP_2)
	v_fma_f16 v220, v24, 0x2de8, -v106
	v_fmac_f16_e32 v106, 0x2de8, v24
	v_add_f16_e64 v220, v220, v224
	v_mul_f16_e64 v224, 0x3bf7, v189
	s_delay_alu instid0(VALU_DEP_1) | instskip(NEXT) | instid1(VALU_DEP_1)
	v_fma_f16 v107, 0x2de8, v27, v224
	v_add_f16_e32 v88, v107, v88
	v_mul_f16_e64 v107, 0x3bf7, v218
	s_delay_alu instid0(VALU_DEP_1) | instskip(SKIP_1) | instid1(VALU_DEP_2)
	v_fma_f16 v108, v155, 0x2de8, -v107
	v_fmac_f16_e64 v107, 0x2de8, v155
	v_add_f16_e32 v86, v108, v86
	v_mul_f16_e64 v108, 0x3bf7, v160
	s_delay_alu instid0(VALU_DEP_1) | instskip(NEXT) | instid1(VALU_DEP_1)
	v_fmamk_f16 v35, v29, 0x2de8, v108
	v_add_f16_e32 v35, v35, v92
	v_mul_f16_e64 v92, 0xb964, v218
	s_delay_alu instid0(VALU_DEP_1) | instskip(SKIP_1) | instid1(VALU_DEP_2)
	v_fma_f16 v218, v155, 0x39e9, -v92
	v_fmac_f16_e64 v92, 0x39e9, v155
	v_add_f16_e64 v218, v218, v220
	v_mul_f16_e64 v220, 0xb964, v160
	s_delay_alu instid0(VALU_DEP_1) | instskip(NEXT) | instid1(VALU_DEP_1)
	v_fma_f16 v45, 0x39e9, v29, v220
	v_add_f16_e32 v45, v45, v88
	v_mul_f16_e64 v88, 0xb5c8, v215
	s_delay_alu instid0(VALU_DEP_1) | instskip(SKIP_1) | instid1(VALU_DEP_2)
	v_fma_f16 v109, v30, 0x3b76, -v88
	v_fmac_f16_e32 v88, 0x3b76, v30
	v_add_f16_e32 v86, v109, v86
	v_mul_f16_e64 v109, 0xb5c8, v183
	s_delay_alu instid0(VALU_DEP_1) | instskip(NEXT) | instid1(VALU_DEP_1)
	v_fmamk_f16 v48, v31, 0x3b76, v109
	v_add_f16_e32 v35, v48, v35
	v_mul_f16_e64 v48, 0xb1e1, v215
	s_delay_alu instid0(VALU_DEP_1) | instskip(SKIP_1) | instid1(VALU_DEP_2)
	v_fma_f16 v215, v30, 0xbbdd, -v48
	v_fmac_f16_e32 v48, 0xbbdd, v30
	v_add_f16_e64 v215, v215, v218
	v_mul_f16_e64 v218, 0xb1e1, v183
	s_delay_alu instid0(VALU_DEP_1) | instskip(NEXT) | instid1(VALU_DEP_1)
	v_fma_f16 v50, 0xbbdd, v31, v218
	v_add_f16_e32 v45, v50, v45
	v_mul_f16_e64 v50, 0xba62, v234
	s_delay_alu instid0(VALU_DEP_1) | instskip(SKIP_1) | instid1(VALU_DEP_2)
	v_fma_f16 v52, v18, 0xb8d2, -v50
	v_fmac_f16_e32 v50, 0xb8d2, v18
	v_add_f16_e32 v52, v52, v86
	v_mul_f16_e64 v86, 0x3b29, v234
	s_delay_alu instid0(VALU_DEP_1) | instskip(SKIP_1) | instid1(VALU_DEP_2)
	v_fma_f16 v234, v18, 0x3722, -v86
	v_fmac_f16_e32 v86, 0x3722, v18
	v_add_f16_e64 v215, v234, v215
	v_mul_f16_e64 v234, 0x3b29, v156
	s_delay_alu instid0(VALU_DEP_1) | instskip(NEXT) | instid1(VALU_DEP_1)
	v_fma_f16 v53, 0x3722, v19, v234
	v_add_f16_e32 v45, v53, v45
	v_mul_f16_e64 v53, 0xba62, v156
	s_delay_alu instid0(VALU_DEP_2) | instskip(NEXT) | instid1(VALU_DEP_2)
	v_pack_b32_f16 v45, v215, v45
	v_fmamk_f16 v55, v19, 0xb8d2, v53
	v_fma_f16 v53, v19, 0xb8d2, -v53
	s_delay_alu instid0(VALU_DEP_2) | instskip(NEXT) | instid1(VALU_DEP_1)
	v_add_f16_e32 v35, v55, v35
	v_pack_b32_f16 v35, v52, v35
	v_pk_mul_f16 v52, 0x3b76, v25 op_sel_hi:[0,1]
	s_delay_alu instid0(VALU_DEP_1) | instskip(SKIP_2) | instid1(VALU_DEP_3)
	v_pk_fma_f16 v55, 0x35c8, v197, v52 op_sel:[0,0,1] op_sel_hi:[0,1,0] neg_lo:[0,1,0] neg_hi:[0,1,0]
	v_pk_fma_f16 v52, 0x35c8, v197, v52 op_sel:[0,0,1] op_sel_hi:[0,1,0]
	v_mul_f16_e64 v197, 0xb836, v111
	v_pk_add_f16 v55, v55, v239
	s_delay_alu instid0(VALU_DEP_3) | instskip(NEXT) | instid1(VALU_DEP_2)
	v_pk_add_f16 v52, v52, v240
	v_pk_add_f16 v55, v81, v55
	s_delay_alu instid0(VALU_DEP_2) | instskip(SKIP_1) | instid1(VALU_DEP_1)
	v_pk_add_f16 v52, v71, v52
	v_pk_mul_f16 v71, 0x39e9, v28 op_sel_hi:[0,1]
	v_pk_fma_f16 v81, 0x3964, v191, v71 op_sel:[0,0,1] op_sel_hi:[0,1,0] neg_lo:[0,1,0] neg_hi:[0,1,0]
	v_pk_fma_f16 v71, 0x3964, v191, v71 op_sel:[0,0,1] op_sel_hi:[0,1,0]
	v_mul_f16_e64 v191, 0x3bb2, v113
	s_delay_alu instid0(VALU_DEP_3) | instskip(NEXT) | instid1(VALU_DEP_3)
	v_pk_add_f16 v55, v81, v55
	v_pk_add_f16 v52, v71, v52
	v_pk_mul_f16 v71, 0xb8d2, v24 op_sel_hi:[0,1]
	v_lshrrev_b32_e32 v24, 16, v34
	s_delay_alu instid0(VALU_DEP_2) | instskip(SKIP_2) | instid1(VALU_DEP_3)
	v_pk_fma_f16 v81, 0xba62, v189, v71 op_sel:[0,0,1] op_sel_hi:[0,1,0] neg_lo:[0,1,0] neg_hi:[0,1,0]
	v_pk_fma_f16 v71, 0xba62, v189, v71 op_sel:[0,0,1] op_sel_hi:[0,1,0]
	v_mul_f16_e64 v189, 0xbb29, v115
	v_pk_add_f16 v55, v81, v55
	s_delay_alu instid0(VALU_DEP_3) | instskip(SKIP_2) | instid1(VALU_DEP_2)
	v_pk_add_f16 v52, v71, v52
	v_pk_mul_f16 v71, 0x3722, v155 op_sel_hi:[0,1]
	v_mul_f16_e64 v155, 0xb1e1, v115
	v_pk_fma_f16 v81, 0x3b29, v160, v71 op_sel:[0,0,1] op_sel_hi:[0,1,0] neg_lo:[0,1,0] neg_hi:[0,1,0]
	v_pk_fma_f16 v71, 0x3b29, v160, v71 op_sel:[0,0,1] op_sel_hi:[0,1,0]
	v_mul_f16_e64 v160, 0x31e1, v114
	s_delay_alu instid0(VALU_DEP_3) | instskip(NEXT) | instid1(VALU_DEP_3)
	v_pk_add_f16 v55, v81, v55
	v_pk_add_f16 v52, v71, v52
	v_pk_mul_f16 v71, 0xb461, v30 op_sel_hi:[0,1]
	v_lshrrev_b32_e32 v30, 16, v46
	s_delay_alu instid0(VALU_DEP_2) | instskip(SKIP_2) | instid1(VALU_DEP_3)
	v_pk_fma_f16 v81, 0xbbb2, v183, v71 op_sel:[0,0,1] op_sel_hi:[0,1,0] neg_lo:[0,1,0] neg_hi:[0,1,0]
	v_pk_fma_f16 v71, 0xbbb2, v183, v71 op_sel:[0,0,1] op_sel_hi:[0,1,0]
	v_pk_mul_f16 v183, 0xb8d23722, v51
	v_pk_add_f16 v55, v81, v55
	s_delay_alu instid0(VALU_DEP_3) | instskip(SKIP_1) | instid1(VALU_DEP_1)
	v_pk_add_f16 v52, v71, v52
	v_pk_mul_f16 v71, 0x2de8, v18 op_sel_hi:[0,1]
	v_pk_fma_f16 v81, 0x3bf7, v156, v71 op_sel:[0,0,1] op_sel_hi:[0,1,0] neg_lo:[0,1,0] neg_hi:[0,1,0]
	v_pk_fma_f16 v71, 0x3bf7, v156, v71 op_sel:[0,0,1] op_sel_hi:[0,1,0]
	s_delay_alu instid0(VALU_DEP_2) | instskip(NEXT) | instid1(VALU_DEP_2)
	v_pk_add_f16 v55, v81, v55
	v_pk_add_f16 v52, v71, v52
	v_fma_f16 v81, v22, 0xbacd, -v242
	s_delay_alu instid0(VALU_DEP_2)
	v_alignbit_b32 v71, v55, v52, 16
	v_alignbit_b32 v52, v52, v55, 16
	ds_store_2addr_b32 v121, v35, v45 offset0:5 offset1:6
	ds_store_2addr_b32 v121, v52, v71 offset0:8 offset1:9
	v_fma_f16 v45, v21, 0xb8d2, -v221
	v_fma_f16 v55, v21, 0xbacd, -v181
	;; [unrolled: 1-line block ×4, first 2 shown]
	v_add_f16_e64 v35, v228, v236
	v_add_f16_e32 v45, v17, v45
	v_add_f16_e32 v55, v17, v55
	v_mul_f16_e64 v181, 0x3836, v113
	v_mul_f16_e64 v182, 0x35c8, v115
	v_add_f16_e64 v35, v226, v35
	v_add_f16_e32 v45, v52, v45
	v_add_f16_e32 v55, v71, v55
	v_fma_f16 v71, v23, 0x3b76, -v241
	v_add_f16_e64 v52, v180, v235
	v_add_f16_e32 v35, v98, v35
	v_pk_mul_f16 v180, 0x3bf7b1e1, v119
	s_delay_alu instid0(VALU_DEP_4)
	v_add_f16_e32 v45, v71, v45
	v_fma_f16 v71, v23, 0x2de8, -v179
	v_add_f16_e64 v52, v176, v52
	v_add_f16_e32 v35, v106, v35
	v_mul_f16_e64 v176, 0xb5c8, v117
	v_pk_mul_f16 v179, 0xbacdb461, v57
	v_add_f16_e32 v55, v71, v55
	v_fma_f16 v71, v26, 0xbacd, -v238
	v_add_f16_e64 v52, v171, v52
	v_add_f16_e32 v35, v92, v35
	v_mul_f16_e64 v171, 0x3964, v116
	s_delay_alu instid0(VALU_DEP_4)
	v_add_f16_e32 v45, v71, v45
	v_fma_f16 v71, v26, 0xb8d2, -v173
	v_add_f16_e64 v52, v169, v52
	v_add_f16_e32 v35, v48, v35
	v_fma_f16 v48, v31, 0xbbdd, -v218
	v_mul_f16_e64 v169, 0x3b29, v118
	v_add_f16_e32 v55, v71, v55
	v_fma_f16 v71, v27, 0x2de8, -v224
	v_add_f16_e64 v52, v167, v52
	v_add_f16_e32 v35, v86, v35
	v_pk_mul_f16 v173, 0x39e93b76, v33
	v_mul_f16_e64 v167, 0x35c8, v119
	v_add_f16_e32 v45, v71, v45
	v_fma_f16 v71, v27, 0x3b76, -v170
	v_lshrrev_b32_e32 v170, 16, v57
	s_delay_alu instid0(VALU_DEP_2) | instskip(SKIP_1) | instid1(VALU_DEP_1)
	v_add_f16_e32 v55, v71, v55
	v_fma_f16 v71, v29, 0x39e9, -v220
	v_add_f16_e32 v45, v71, v45
	v_fma_f16 v71, v29, 0xbbdd, -v168
	v_lshrrev_b32_e32 v168, 16, v60
	s_delay_alu instid0(VALU_DEP_3) | instskip(NEXT) | instid1(VALU_DEP_3)
	v_add_f16_e32 v45, v48, v45
	v_add_f16_e32 v55, v71, v55
	v_add_f16_e64 v48, v188, v52
	v_fma_f16 v52, v31, 0x39e9, -v190
	v_fma_f16 v71, v22, 0xbbdd, -v246
	v_mul_f16_e64 v188, 0xb836, v117
	v_mul_f16_e64 v190, 0xb836, v119
	v_add_f16_e64 v48, v206, v48
	v_add_f16_e32 v52, v52, v55
	v_fma_f16 v55, v19, 0x3722, -v234
	v_mul_f16_e64 v206, 0xb964, v117
	s_delay_alu instid0(VALU_DEP_2) | instskip(SKIP_2) | instid1(VALU_DEP_3)
	v_add_f16_e32 v45, v55, v45
	v_fma_f16 v55, v19, 0xb461, -v208
	v_mul_f16_e64 v208, 0xba62, v119
	v_pack_b32_f16 v35, v35, v45
	s_delay_alu instid0(VALU_DEP_3) | instskip(SKIP_3) | instid1(VALU_DEP_4)
	v_add_f16_e32 v52, v55, v52
	v_fma_f16 v55, v21, 0x2de8, -v245
	v_add_f16_e64 v45, v244, v211
	v_mul_f16_e64 v211, 0xb1e1, v117
	v_pack_b32_f16 v48, v48, v52
	s_delay_alu instid0(VALU_DEP_4) | instskip(NEXT) | instid1(VALU_DEP_4)
	v_add_f16_e32 v55, v17, v55
	v_add_f16_e64 v45, v247, v45
	v_fma_f16 v52, v22, 0x2de8, -v177
	v_fma_f16 v22, v22, 0xb8d2, -v214
	v_pk_mul_f16 v177, 0xb461b8d2, v49
	v_add_f16_e32 v55, v71, v55
	v_add_f16_e64 v71, v73, v210
	v_fma_f16 v73, v21, 0xb461, -v237
	v_add_f16_e64 v45, v249, v45
	v_mul_f16_e64 v210, 0xb5c8, v116
	v_mul_f16_e64 v214, 0xbbb2, v119
	v_add_f16_e64 v71, v243, v71
	v_add_f16_e32 v73, v17, v73
	v_add_f16_e64 v45, v251, v45
	s_delay_alu instid0(VALU_DEP_3) | instskip(NEXT) | instid1(VALU_DEP_3)
	v_add_f16_e32 v71, v94, v71
	v_add_f16_e32 v73, v81, v73
	v_fma_f16 v81, v23, 0xb461, -v248
	s_delay_alu instid0(VALU_DEP_4) | instskip(NEXT) | instid1(VALU_DEP_4)
	v_add_f16_e64 v45, v253, v45
	v_add_f16_e32 v71, v100, v71
	s_delay_alu instid0(VALU_DEP_3) | instskip(SKIP_1) | instid1(VALU_DEP_4)
	v_add_f16_e32 v55, v81, v55
	v_fma_f16 v81, v23, 0x39e9, -v90
	v_add_f16_e32 v45, v76, v45
	v_fma_f16 v76, v31, 0xb8d2, -v77
	v_add_f16_e32 v71, v107, v71
	s_delay_alu instid0(VALU_DEP_4) | instskip(SKIP_2) | instid1(VALU_DEP_4)
	v_add_f16_e32 v73, v81, v73
	v_fma_f16 v81, v26, 0x3b76, -v250
	v_add_f16_e32 v45, v79, v45
	v_add_f16_e32 v71, v88, v71
	s_delay_alu instid0(VALU_DEP_3) | instskip(SKIP_1) | instid1(VALU_DEP_3)
	v_add_f16_e32 v55, v81, v55
	v_fma_f16 v81, v26, 0x3722, -v96
	v_add_f16_e32 v50, v50, v71
	s_delay_alu instid0(VALU_DEP_2) | instskip(SKIP_1) | instid1(VALU_DEP_1)
	v_add_f16_e32 v73, v81, v73
	v_fma_f16 v81, v27, 0x3722, -v252
	v_add_f16_e32 v55, v81, v55
	v_fma_f16 v81, v27, 0xbbdd, -v104
	s_delay_alu instid0(VALU_DEP_1) | instskip(SKIP_1) | instid1(VALU_DEP_1)
	v_add_f16_e32 v73, v81, v73
	v_fma_f16 v81, v29, 0xbacd, -v254
	v_add_f16_e32 v55, v81, v55
	v_fma_f16 v81, v29, 0x2de8, -v108
	s_delay_alu instid0(VALU_DEP_2) | instskip(NEXT) | instid1(VALU_DEP_2)
	v_add_f16_e32 v55, v76, v55
	v_add_f16_e32 v73, v81, v73
	v_fma_f16 v76, v31, 0x3b76, -v109
	v_mul_f16_e32 v81, 0x3964, v115
	s_delay_alu instid0(VALU_DEP_2) | instskip(SKIP_3) | instid1(VALU_DEP_4)
	v_add_f16_e32 v73, v76, v73
	v_fma_f16 v76, v19, 0x39e9, -v84
	v_fma_f16 v19, v19, 0x3b76, -v207
	v_mul_f16_e64 v207, 0x3a62, v115
	v_add_f16_e32 v53, v53, v73
	s_delay_alu instid0(VALU_DEP_4) | instskip(SKIP_1) | instid1(VALU_DEP_3)
	v_add_f16_e32 v55, v76, v55
	v_mul_f16_e32 v76, 0xb836, v114
	v_pack_b32_f16 v50, v50, v53
	s_delay_alu instid0(VALU_DEP_3)
	v_pack_b32_f16 v45, v45, v55
	ds_store_2addr_b32 v121, v48, v35 offset0:10 offset1:11
	v_fma_f16 v35, v21, 0x39e9, -v178
	v_fma_f16 v21, v21, 0x3722, -v216
	v_pk_add_f16 v48, v175, v164
	v_mul_f16_e32 v53, 0x35c8, v113
	v_lshrrev_b32_e32 v164, 16, v51
	v_add_f16_e32 v35, v17, v35
	v_add_f16_e32 v21, v17, v21
	v_pk_add_f16 v48, v186, v48
	v_add_f16_e64 v17, v17, v158
	v_mul_f16_e64 v158, 0x3836, v116
	v_add_f16_e32 v35, v52, v35
	v_add_f16_e32 v21, v22, v21
	v_fma_f16 v22, v23, 0xb8d2, -v187
	v_fma_f16 v23, v23, 0xbbdd, -v223
	v_add_f16_e64 v52, v212, v163
	v_pk_add_f16 v48, v193, v48
	v_add_f16_e32 v16, v16, v17
	v_add_f16_e32 v22, v22, v35
	v_add_f16_e32 v21, v23, v21
	v_fma_f16 v23, v26, 0xbbdd, -v195
	v_fma_f16 v26, v26, 0xb461, -v227
	v_add_f16_e64 v35, v213, v52
	v_add_f16_e64 v16, v162, v16
	v_mul_f16_e64 v162, 0xb1e1, v113
	v_add_f16_e32 v22, v23, v22
	v_add_f16_e32 v21, v26, v21
	v_fma_f16 v23, v27, 0xbacd, -v200
	v_fma_f16 v26, v27, 0x39e9, -v229
	v_add_f16_e64 v27, v217, v35
	v_pk_add_f16 v35, v198, v48
	v_add_f16_e64 v16, v166, v16
	v_add_f16_e32 v22, v23, v22
	v_add_f16_e32 v21, v26, v21
	v_fma_f16 v23, v29, 0xb461, -v203
	v_fma_f16 v26, v29, 0x3b76, -v231
	v_pk_add_f16 v29, v202, v35
	v_add_f16_e64 v27, v222, v27
	v_add_f16_e64 v16, v174, v16
	v_add_f16_e32 v22, v23, v22
	v_add_f16_e32 v21, v26, v21
	v_fma_f16 v23, v31, 0x2de8, -v232
	v_fma_f16 v26, v31, 0x3722, -v205
	v_pk_mul_f16 v31, 0x35c8b1e1, v156
	v_add_f16_e64 v27, v219, v27
	v_add_f16_e64 v16, v185, v16
	v_pack_b32_f16 v23, v23, v209
	v_add_f16_e32 v22, v26, v22
	v_bfi_b32 v21, 0xffff, v21, v31
	v_mul_f16_e64 v31, 0xb836, v156
	v_add_f16_e64 v26, v225, v27
	v_add_f16_e64 v16, v194, v16
	v_add_f16_e32 v19, v19, v22
	v_pk_add_f16 v21, v23, v21
	v_bfi_b32 v31, 0xffff, v31, v29
	v_pk_add_f16 v29, v204, v29
	v_add_f16_e64 v22, v230, v26
	v_add_f16_e64 v16, v199, v16
	v_mul_f16_e64 v194, 0xb5c8, v112
	v_pk_add_f16 v31, v233, v31 neg_lo:[0,1] neg_hi:[0,1]
	v_mul_f16_e64 v193, 0xba62, v111
	v_mul_f16_e64 v198, 0x3b29, v113
	v_pk_mul_f16 v204, 0xb1e1b5c8, v111
	v_mul_f16_e32 v52, 0xb1e1, v111
	v_bfi_b32 v23, 0xffff, v31, v29
	v_mul_f16_e32 v31, 0xba62, v113
	v_mul_f16_e64 v187, 0x3964, v114
	v_mul_f16_e64 v203, 0xbbf7, v114
	v_lshrrev_b32_e32 v156, 16, v47
	v_pk_add_f16 v21, v23, v21
	v_mul_f16_e32 v23, 0xb964, v111
	v_mul_f16_e64 v166, 0x3bb2, v115
	v_mul_f16_e64 v186, 0xbb29, v116
	;; [unrolled: 1-line block ×3, first 2 shown]
	v_alignbit_b32 v19, v19, v21, 16
	v_pack_b32_f16 v21, v22, v21
	ds_store_2addr_b32 v121, v50, v45 offset0:12 offset1:13
	v_add_f16_e64 v22, v159, v157
	v_lshrrev_b32_e32 v159, 16, v49
	v_mul_f16_e64 v205, 0x3bf7, v116
	v_mul_f16_e64 v163, 0x3bb2, v117
	;; [unrolled: 1-line block ×3, first 2 shown]
	v_add_f16_e64 v20, v161, v22
	v_pk_mul_f16 v157, 0x3b29ba62, v117
	v_mul_f16_e64 v185, 0xbbf7, v118
	v_mul_f16_e64 v202, 0xb5c8, v118
	;; [unrolled: 1-line block ×3, first 2 shown]
	v_add_f16_e64 v17, v165, v20
	v_mul_f16_e32 v20, 0xbbf7, v113
	v_mul_f16_e64 v165, 0xbbf7, v111
	v_mul_f16_e64 v212, 0x3964, v118
	v_pk_mul_f16 v161, 0xbbb2b836, v118
	v_add_f16_e64 v17, v172, v17
	v_mul_f16_e64 v172, 0x3bb2, v114
	v_pk_mul_f16 v174, 0x3722bacd, v46
	v_pk_mul_f16 v178, 0x2de839e9, v47
	v_mul_f16_e64 v200, 0x3964, v119
	v_add_f16_e64 v17, v184, v17
	v_mul_f16_e64 v184, 0xbbb2, v111
	v_mul_f16_e64 v213, 0x3b29, v119
	v_pk_mul_f16 v175, 0xbbdd2de8, v60
	s_delay_alu instid0(VALU_DEP_4) | instskip(SKIP_1) | instid1(VALU_DEP_2)
	v_add_f16_e64 v17, v192, v17
	v_mul_f16_e64 v192, 0x3a62, v118
	v_add_f16_e64 v17, v201, v17
	v_mul_f16_e64 v201, 0xb836, v115
	s_delay_alu instid0(VALU_DEP_2)
	v_pack_b32_f16 v22, v17, v16
	ds_store_2addr_b32 v121, v21, v19 offset0:14 offset1:15
	v_mul_f16_e64 v16, 0xb964, v154
	v_fma_f16 v17, 0x3b76, v34, v194
	v_lshrrev_b32_e32 v19, 16, v0
	ds_store_b32 v121, v22 offset:64
	v_lshrrev_b32_e32 v21, 16, v33
	v_fmamk_f16 v18, v33, 0x39e9, v16
	v_add_f16_e32 v17, v17, v0
	v_mul_f16_e64 v154, 0xbb29, v111
	v_add_co_u32 v22, null, v101, 17
	s_delay_alu instid0(VALU_DEP_3) | instskip(SKIP_2) | instid1(VALU_DEP_2)
	v_add_f16_e32 v25, v18, v17
	v_fma_f16 v17, v24, 0x39e9, -v23
	v_fma_f16 v18, v21, 0x2de8, -v20
	v_add_f16_e32 v17, v17, v19
	s_delay_alu instid0(VALU_DEP_1) | instskip(SKIP_2) | instid1(VALU_DEP_2)
	v_add_f16_e32 v26, v18, v17
	v_fma_f16 v17, v24, 0x3722, -v154
	v_fma_f16 v18, v21, 0xb8d2, -v31
	v_add_f16_e32 v17, v17, v19
	s_delay_alu instid0(VALU_DEP_1) | instskip(SKIP_2) | instid1(VALU_DEP_2)
	;; [unrolled: 5-line block ×5, first 2 shown]
	v_add_f16_e32 v45, v18, v17
	v_fma_f16 v17, v24, 0xbacd, -v197
	v_fma_f16 v18, v21, 0x3722, -v198
	v_add_f16_e32 v17, v17, v19
	s_delay_alu instid0(VALU_DEP_1) | instskip(SKIP_1) | instid1(VALU_DEP_1)
	v_add_f16_e32 v48, v18, v17
	v_pk_fma_f16 v17, 0x3b76bbdd, v34, v204 op_sel:[0,0,1] op_sel_hi:[1,1,0] neg_lo:[0,0,1] neg_hi:[0,0,1]
	v_pk_add_f16 v18, v17, v0
	v_pk_mul_f16 v17, 0x35c8b964, v113
	s_delay_alu instid0(VALU_DEP_1) | instskip(NEXT) | instid1(VALU_DEP_1)
	v_pk_fma_f16 v29, 0x39e93b76, v33, v17 op_sel:[0,0,1] op_sel_hi:[1,1,0] neg_lo:[0,0,1] neg_hi:[0,0,1]
	v_pk_add_f16 v50, v29, v18
	v_fma_f16 v18, v24, 0xbbdd, -v52
	v_fma_f16 v29, v21, 0x3b76, -v53
	v_fmamk_f16 v52, v24, 0xbbdd, v52
	s_delay_alu instid0(VALU_DEP_3) | instskip(NEXT) | instid1(VALU_DEP_2)
	v_add_f16_e32 v18, v18, v19
	v_pack_b32_f16 v52, v52, v173
	s_delay_alu instid0(VALU_DEP_2) | instskip(SKIP_1) | instid1(VALU_DEP_1)
	v_add_f16_e32 v55, v29, v18
	v_mul_f16_e32 v18, 0xbb29, v120
	v_fmamk_f16 v29, v46, 0x3722, v18
	s_delay_alu instid0(VALU_DEP_1) | instskip(SKIP_1) | instid1(VALU_DEP_1)
	v_add_f16_e32 v71, v29, v25
	v_mul_f16_e32 v29, 0xba62, v114
	v_fma_f16 v25, v30, 0xb8d2, -v29
	s_delay_alu instid0(VALU_DEP_1) | instskip(SKIP_1) | instid1(VALU_DEP_1)
	v_add_f16_e32 v73, v25, v26
	v_fma_f16 v25, v30, 0xbbdd, -v160
	v_add_f16_e32 v27, v25, v27
	v_fma_f16 v25, v30, 0xb461, -v172
	s_delay_alu instid0(VALU_DEP_1) | instskip(SKIP_1) | instid1(VALU_DEP_1)
	v_add_f16_e32 v28, v25, v28
	v_fma_f16 v25, v30, 0x39e9, -v187
	v_add_f16_e32 v35, v25, v35
	v_fma_f16 v25, v30, 0x3b76, -v196
	s_delay_alu instid0(VALU_DEP_1) | instskip(SKIP_1) | instid1(VALU_DEP_1)
	v_add_f16_e32 v45, v25, v45
	v_fma_f16 v25, v30, 0x2de8, -v203
	v_add_f16_e32 v48, v25, v48
	v_pk_mul_f16 v25, 0xb836bb29, v114
	s_delay_alu instid0(VALU_DEP_1) | instskip(NEXT) | instid1(VALU_DEP_1)
	v_pk_fma_f16 v26, 0x3722bacd, v46, v25 op_sel:[0,0,1] op_sel_hi:[1,1,0] neg_lo:[0,0,1] neg_hi:[0,0,1]
	v_pk_add_f16 v50, v26, v50
	v_fma_f16 v26, v30, 0xbacd, -v76
	s_delay_alu instid0(VALU_DEP_1) | instskip(SKIP_1) | instid1(VALU_DEP_1)
	v_add_f16_e32 v55, v26, v55
	v_mul_f16_e64 v26, 0xbbf7, v145
	v_fmamk_f16 v77, v47, 0x2de8, v26
	s_delay_alu instid0(VALU_DEP_1) | instskip(SKIP_1) | instid1(VALU_DEP_1)
	v_add_f16_e32 v71, v77, v71
	v_fma_f16 v77, v156, 0xbbdd, -v155
	v_add_f16_e32 v73, v77, v73
	v_fma_f16 v77, v156, 0xb461, -v166
	s_delay_alu instid0(VALU_DEP_1) | instskip(SKIP_1) | instid1(VALU_DEP_1)
	v_add_f16_e32 v77, v77, v27
	v_fma_f16 v27, v156, 0x3b76, -v182
	v_add_f16_e32 v79, v27, v28
	v_fma_f16 v27, v156, 0x3722, -v189
	v_pk_mul_f16 v28, 0x3964bbf7, v115
	s_delay_alu instid0(VALU_DEP_2) | instskip(SKIP_1) | instid1(VALU_DEP_1)
	v_add_f16_e32 v35, v27, v35
	v_fma_f16 v27, v156, 0xbacd, -v201
	v_add_f16_e32 v45, v27, v45
	v_fma_f16 v27, v156, 0xb8d2, -v207
	s_delay_alu instid0(VALU_DEP_1) | instskip(SKIP_1) | instid1(VALU_DEP_1)
	v_add_f16_e32 v48, v27, v48
	v_pk_fma_f16 v27, 0x2de839e9, v47, v28 op_sel:[0,0,1] op_sel_hi:[1,1,0] neg_lo:[0,0,1] neg_hi:[0,0,1]
	v_pk_add_f16 v50, v27, v50
	v_fma_f16 v27, v156, 0x39e9, -v81
	s_delay_alu instid0(VALU_DEP_1) | instskip(SKIP_2) | instid1(VALU_DEP_2)
	v_add_f16_e32 v55, v27, v55
	v_mul_f16_e64 v27, 0xbbb2, v150
	v_pk_mul_f16 v150, 0xba62bbb2, v116
	v_fmamk_f16 v84, v49, 0xb461, v27
	s_delay_alu instid0(VALU_DEP_1) | instskip(SKIP_1) | instid1(VALU_DEP_1)
	v_add_f16_e32 v71, v84, v71
	v_fma_f16 v84, v159, 0xbacd, -v158
	v_add_f16_e32 v73, v84, v73
	v_fma_f16 v84, v159, 0x39e9, -v171
	s_delay_alu instid0(VALU_DEP_1) | instskip(SKIP_1) | instid1(VALU_DEP_1)
	v_add_f16_e32 v77, v84, v77
	v_fma_f16 v84, v159, 0x3722, -v186
	v_add_f16_e32 v79, v84, v79
	v_fma_f16 v84, v159, 0xbbdd, -v195
	s_delay_alu instid0(VALU_DEP_1) | instskip(SKIP_1) | instid1(VALU_DEP_1)
	v_add_f16_e32 v35, v84, v35
	v_fma_f16 v84, v159, 0x2de8, -v205
	v_add_f16_e32 v45, v84, v45
	v_fma_f16 v84, v159, 0x3b76, -v210
	s_delay_alu instid0(VALU_DEP_1) | instskip(SKIP_1) | instid1(VALU_DEP_1)
	v_add_f16_e32 v48, v84, v48
	v_pk_fma_f16 v84, 0xb461b8d2, v49, v150 op_sel:[0,0,1] op_sel_hi:[1,1,0] neg_lo:[0,0,1] neg_hi:[0,0,1]
	v_pk_add_f16 v50, v84, v50
	v_mul_f16_e32 v84, 0xba62, v116
	s_delay_alu instid0(VALU_DEP_1) | instskip(NEXT) | instid1(VALU_DEP_1)
	v_fma_f16 v86, v159, 0xb8d2, -v84
	v_add_f16_e32 v55, v86, v55
	v_fma_f16 v86, 0xb8d2, v51, v151
	s_delay_alu instid0(VALU_DEP_1) | instskip(SKIP_1) | instid1(VALU_DEP_1)
	v_add_f16_e32 v71, v86, v71
	v_fma_f16 v86, v164, 0xb461, -v163
	v_add_f16_e32 v73, v86, v73
	v_fma_f16 v86, v164, 0x3b76, -v176
	s_delay_alu instid0(VALU_DEP_1) | instskip(SKIP_1) | instid1(VALU_DEP_1)
	v_add_f16_e32 v77, v86, v77
	v_fma_f16 v86, v164, 0xbacd, -v188
	v_add_f16_e32 v79, v86, v79
	v_fma_f16 v86, v164, 0x2de8, -v199
	s_delay_alu instid0(VALU_DEP_1) | instskip(SKIP_1) | instid1(VALU_DEP_1)
	v_add_f16_e32 v35, v86, v35
	v_fma_f16 v86, v164, 0x39e9, -v206
	v_add_f16_e32 v45, v86, v45
	v_fma_f16 v86, v164, 0xbbdd, -v211
	s_delay_alu instid0(VALU_DEP_1) | instskip(SKIP_1) | instid1(VALU_DEP_1)
	v_add_f16_e32 v48, v86, v48
	v_pk_fma_f16 v86, 0xb8d23722, v51, v157 op_sel:[0,0,1] op_sel_hi:[1,1,0] neg_lo:[0,0,1] neg_hi:[0,0,1]
	v_pk_add_f16 v50, v86, v50
	v_mul_f16_e32 v86, 0x3b29, v117
	s_delay_alu instid0(VALU_DEP_1) | instskip(NEXT) | instid1(VALU_DEP_1)
	v_fma_f16 v88, v164, 0x3722, -v86
	v_add_f16_e32 v55, v88, v55
	v_fma_f16 v88, 0xbacd, v57, v152
	;; [unrolled: 24-line block ×3, first 2 shown]
	s_delay_alu instid0(VALU_DEP_1) | instskip(SKIP_1) | instid1(VALU_DEP_1)
	v_add_f16_e32 v83, v90, v71
	v_pk_fma_f16 v71, 0x3b76bbdd, v34, v204 op_sel:[0,0,1] op_sel_hi:[1,1,0]
	v_pack_b32_f16 v53, v53, v71
	v_mul_f16_e32 v71, 0x3b76, v21
	s_delay_alu instid0(VALU_DEP_1) | instskip(NEXT) | instid1(VALU_DEP_1)
	v_perm_b32 v71, v0, v71, 0x5040100
	v_pk_add_f16 v53, v53, v71
	v_perm_b32 v71, v17, v0, 0x7060302
	s_delay_alu instid0(VALU_DEP_1) | instskip(SKIP_1) | instid1(VALU_DEP_2)
	v_pk_add_f16 v52, v52, v71
	v_fma_f16 v71, v168, 0x3b76, -v167
	v_pk_add_f16 v52, v52, v53
	s_delay_alu instid0(VALU_DEP_2) | instskip(SKIP_2) | instid1(VALU_DEP_2)
	v_add_f16_e32 v78, v71, v73
	v_mul_f16_e32 v71, 0xbacd, v30
	v_pack_b32_f16 v53, v76, v174
	v_bfi_b32 v71, 0xffff, v71, v25
	s_delay_alu instid0(VALU_DEP_1) | instskip(SKIP_1) | instid1(VALU_DEP_2)
	v_pk_add_f16 v53, v53, v71
	v_fma_f16 v71, v168, 0xbacd, -v190
	v_pk_add_f16 v52, v53, v52
	s_delay_alu instid0(VALU_DEP_2) | instskip(SKIP_2) | instid1(VALU_DEP_2)
	v_add_f16_e32 v80, v71, v77
	v_mul_f16_e64 v71, 0x39e9, v156
	v_pack_b32_f16 v53, v81, v178
	v_bfi_b32 v71, 0xffff, v71, v28
	s_delay_alu instid0(VALU_DEP_1) | instskip(SKIP_1) | instid1(VALU_DEP_2)
	v_pk_add_f16 v53, v53, v71
	v_fma_f16 v71, v168, 0x39e9, -v200
	v_pk_add_f16 v52, v53, v52
	s_delay_alu instid0(VALU_DEP_2) | instskip(SKIP_2) | instid1(VALU_DEP_2)
	v_add_f16_e32 v82, v71, v79
	v_mul_f16_e64 v71, 0xb8d2, v159
	v_pack_b32_f16 v53, v84, v177
	v_bfi_b32 v71, 0xffff, v71, v150
	s_delay_alu instid0(VALU_DEP_1) | instskip(SKIP_1) | instid1(VALU_DEP_1)
	v_pk_add_f16 v53, v53, v71
	v_fma_f16 v71, v168, 0xb8d2, -v208
	v_add_f16_e32 v85, v71, v35
	s_delay_alu instid0(VALU_DEP_3) | instskip(SKIP_2) | instid1(VALU_DEP_2)
	v_pk_add_f16 v35, v53, v52
	v_mul_f16_e64 v53, 0x3722, v164
	v_pack_b32_f16 v52, v86, v183
	v_bfi_b32 v53, 0xffff, v53, v157
	s_delay_alu instid0(VALU_DEP_1) | instskip(SKIP_1) | instid1(VALU_DEP_2)
	v_pk_add_f16 v52, v52, v53
	v_fma_f16 v53, v168, 0x3722, -v213
	v_pk_add_f16 v35, v52, v35
	v_mul_f16_e64 v52, 0xb461, v170
	s_delay_alu instid0(VALU_DEP_3) | instskip(SKIP_1) | instid1(VALU_DEP_3)
	v_add_f16_e32 v116, v53, v45
	v_pack_b32_f16 v45, v88, v179
	v_bfi_b32 v52, 0xffff, v52, v161
	s_delay_alu instid0(VALU_DEP_1) | instskip(SKIP_1) | instid1(VALU_DEP_2)
	v_pk_add_f16 v45, v45, v52
	v_fma_f16 v52, v168, 0xb461, -v214
	v_pk_add_f16 v35, v45, v35
	s_delay_alu instid0(VALU_DEP_2) | instskip(SKIP_2) | instid1(VALU_DEP_2)
	v_add_f16_e64 v215, v52, v48
	v_mul_f16_e32 v45, 0x3bf7, v119
	v_mul_f16_e64 v48, 0x2de8, v168
	v_pack_b32_f16 v52, v45, v175
	s_delay_alu instid0(VALU_DEP_2) | instskip(NEXT) | instid1(VALU_DEP_1)
	v_bfi_b32 v48, 0xffff, v48, v180
	v_pk_add_f16 v48, v52, v48
	v_pk_fma_f16 v52, 0xbbdd2de8, v60, v180 op_sel:[0,0,1] op_sel_hi:[1,1,0] neg_lo:[0,0,1] neg_hi:[0,0,1]
	s_delay_alu instid0(VALU_DEP_2) | instskip(SKIP_1) | instid1(VALU_DEP_3)
	v_pk_add_f16 v118, v48, v35
	v_fma_f16 v35, v168, 0x2de8, -v45
	v_pk_add_f16 v145, v52, v50
	s_delay_alu instid0(VALU_DEP_2)
	v_add_f16_e32 v117, v35, v55
	v_mul_u32_u24_e32 v35, 17, v22
	scratch_store_b32 off, v35, off offset:72 ; 4-byte Folded Spill
	s_and_saveexec_b32 s2, vcc_lo
	s_cbranch_execz .LBB0_7
; %bb.6:
	v_pk_add_f16 v1, v1, v0
	s_delay_alu instid0(VALU_DEP_1) | instskip(SKIP_1) | instid1(VALU_DEP_2)
	v_pk_add_f16 v1, v14, v1
	v_mul_f16_e32 v14, 0x2de8, v46
	v_pk_add_f16 v1, v15, v1
	s_delay_alu instid0(VALU_DEP_2) | instskip(SKIP_1) | instid1(VALU_DEP_3)
	v_sub_f16_e64 v14, v14, v147
	v_mul_f16_e32 v15, 0xb8d2, v21
	v_pk_add_f16 v1, v12, v1
	v_mul_f16_e32 v12, 0x3722, v33
	s_delay_alu instid0(VALU_DEP_3) | instskip(SKIP_4) | instid1(VALU_DEP_3)
	v_add_f16_e32 v15, v31, v15
	scratch_load_b32 v31, off, off offset:88 th:TH_LOAD_LU ; 4-byte Folded Reload
	v_pk_add_f16 v1, v13, v1
	v_mul_f16_e64 v13, 0x3b76, v159
	v_sub_f16_e64 v12, v12, v146
	v_pk_add_f16 v1, v10, v1
	v_pk_mul_f16 v10, 0x3b76bbdd, v34
	s_delay_alu instid0(VALU_DEP_4) | instskip(NEXT) | instid1(VALU_DEP_3)
	v_add_f16_e64 v13, v210, v13
	v_pk_add_f16 v1, v11, v1
	s_delay_alu instid0(VALU_DEP_3) | instskip(NEXT) | instid1(VALU_DEP_2)
	v_bfi_b32 v11, 0xffff, v194, v10
	v_pk_add_f16 v1, v8, v1
	v_mul_f16_e32 v8, 0x3722, v34
	s_delay_alu instid0(VALU_DEP_2) | instskip(SKIP_1) | instid1(VALU_DEP_3)
	v_pk_add_f16 v1, v9, v1
	v_alignbit_b32 v9, v204, v204, 16
	v_sub_f16_e32 v8, v8, v66
	s_delay_alu instid0(VALU_DEP_3) | instskip(NEXT) | instid1(VALU_DEP_3)
	v_pk_add_f16 v1, v6, v1
	v_pk_add_f16 v9, v9, v10
	v_mul_f16_e32 v10, 0x3b76, v34
	v_mul_f16_e32 v6, 0xb461, v34
	v_add_f16_e32 v8, v8, v0
	v_pk_add_f16 v1, v7, v1
	v_mul_f16_e32 v7, 0x2de8, v34
	v_pk_add_f16 v10, v10, v11 neg_lo:[0,1] neg_hi:[0,1]
	v_mul_f16_e32 v11, 0x39e9, v34
	v_sub_f16_e64 v6, v6, v139
	v_pk_add_f16 v1, v4, v1
	v_mul_f16_e32 v4, 0xbacd, v34
	v_sub_f16_e64 v7, v7, v138
	v_sub_f16_e32 v11, v11, v38
	v_bfi_b32 v9, 0xffff, v10, v9
	v_pk_add_f16 v1, v5, v1
	v_mul_f16_e32 v5, 0xb8d2, v34
	v_sub_f16_e64 v4, v4, v149
	v_add_f16_e32 v6, v6, v0
	v_add_f16_e32 v7, v7, v0
	v_pk_add_f16 v1, v2, v1
	v_mul_f16_e32 v2, 0xbacd, v24
	v_sub_f16_e64 v5, v5, v148
	v_add_f16_e32 v4, v4, v0
	v_add_f16_e32 v10, v11, v0
	v_pk_add_f16 v1, v3, v1
	v_add_f16_e64 v2, v197, v2
	v_mul_f16_e32 v3, 0x3722, v21
	v_add_f16_e32 v5, v5, v0
	v_pk_add_f16 v0, v9, v0
	v_mul_f16_e32 v9, 0x2de8, v30
	v_add_f16_e32 v2, v2, v19
	v_add_f16_e64 v3, v198, v3
	v_mul_f16_e64 v11, 0xb8d2, v156
	v_add_f16_e32 v4, v12, v4
	v_add_f16_e64 v9, v203, v9
	v_mul_f16_e32 v12, 0xb461, v21
	v_add_f16_e32 v2, v3, v2
	v_add_f16_e64 v11, v207, v11
	v_mul_f16_e32 v3, 0xb8d2, v24
	v_add_f16_e32 v4, v14, v4
	v_add_f16_e64 v12, v191, v12
	v_add_f16_e32 v2, v9, v2
	v_mul_f16_e64 v9, 0xbbdd, v164
	v_add_f16_e64 v3, v193, v3
	v_mul_f16_e32 v14, 0xbbdd, v21
	v_pk_add_f16 v1, v32, v1
	v_add_f16_e32 v2, v11, v2
	v_add_f16_e64 v9, v211, v9
	v_mul_f16_e32 v11, 0xb8d2, v47
	v_add_f16_e32 v3, v3, v19
	v_add_f16_e64 v14, v162, v14
	v_add_f16_e32 v2, v13, v2
	v_mul_f16_e32 v13, 0xbacd, v21
	v_sub_f16_e64 v11, v11, v144
	v_add_f16_e32 v3, v12, v3
	v_mul_f16_e32 v12, 0x3b76, v30
	v_add_f16_e32 v2, v9, v2
	v_mul_f16_e64 v9, 0x39e9, v170
	v_add_f16_e32 v4, v11, v4
	v_mul_f16_e32 v11, 0x3b76, v49
	v_add_f16_e64 v12, v196, v12
	v_add_f16_e64 v13, v181, v13
	v_add_f16_e64 v9, v212, v9
	s_delay_alu instid0(VALU_DEP_4) | instskip(NEXT) | instid1(VALU_DEP_4)
	v_sub_f16_e64 v11, v11, v142
	v_add_f16_e32 v3, v12, v3
	v_mul_f16_e64 v12, 0xbacd, v156
	s_delay_alu instid0(VALU_DEP_4) | instskip(SKIP_4) | instid1(VALU_DEP_4)
	v_add_f16_e32 v2, v9, v2
	v_mul_f16_e64 v9, 0xb461, v168
	v_add_f16_e32 v4, v11, v4
	v_mul_f16_e32 v11, 0xbbdd, v51
	v_add_f16_e64 v12, v201, v12
	v_add_f16_e64 v9, v214, v9
	s_delay_alu instid0(VALU_DEP_3) | instskip(NEXT) | instid1(VALU_DEP_3)
	v_sub_f16_e64 v11, v11, v140
	v_add_f16_e32 v3, v12, v3
	v_mul_f16_e32 v12, 0xb461, v33
	s_delay_alu instid0(VALU_DEP_4) | instskip(SKIP_4) | instid1(VALU_DEP_4)
	v_add_f16_e32 v2, v9, v2
	v_mul_f16_e32 v9, 0x39e9, v57
	v_add_f16_e32 v4, v11, v4
	v_mul_f16_e64 v11, 0x2de8, v159
	v_sub_f16_e64 v12, v12, v136
	v_sub_f16_e64 v9, v9, v141
	s_delay_alu instid0(VALU_DEP_3) | instskip(NEXT) | instid1(VALU_DEP_3)
	v_add_f16_e64 v11, v205, v11
	v_add_f16_e32 v5, v12, v5
	v_mul_f16_e32 v12, 0x3b76, v46
	s_delay_alu instid0(VALU_DEP_4) | instskip(SKIP_4) | instid1(VALU_DEP_4)
	v_add_f16_e32 v4, v9, v4
	v_mul_f16_e32 v9, 0xb461, v60
	v_add_f16_e32 v3, v11, v3
	v_mul_f16_e64 v11, 0x39e9, v164
	v_sub_f16_e64 v12, v12, v137
	v_sub_f16_e64 v9, v9, v143
	s_delay_alu instid0(VALU_DEP_3) | instskip(NEXT) | instid1(VALU_DEP_3)
	v_add_f16_e64 v11, v206, v11
	v_add_f16_e32 v5, v12, v5
	v_mul_f16_e32 v12, 0xbacd, v47
	s_delay_alu instid0(VALU_DEP_4)
	v_add_f16_e32 v4, v9, v4
	v_mul_f16_e32 v9, 0xb461, v24
	v_add_f16_e32 v3, v11, v3
	v_mul_f16_e64 v11, 0xbbdd, v170
	v_sub_f16_e64 v12, v12, v135
	v_pack_b32_f16 v2, v4, v2
	v_add_f16_e64 v9, v184, v9
	v_perm_b32 v4, v82, v42, 0x5040100
	v_add_f16_e64 v11, v209, v11
	v_add_f16_e32 v5, v12, v5
	v_mul_f16_e32 v12, 0x2de8, v49
	v_add_f16_e32 v9, v9, v19
	s_delay_alu instid0(VALU_DEP_4) | instskip(SKIP_1) | instid1(VALU_DEP_4)
	v_add_f16_e32 v3, v11, v3
	v_mul_f16_e64 v11, 0x3722, v168
	v_sub_f16_e64 v12, v12, v134
	s_delay_alu instid0(VALU_DEP_4) | instskip(SKIP_1) | instid1(VALU_DEP_4)
	v_add_f16_e32 v9, v13, v9
	v_mul_f16_e32 v13, 0x39e9, v30
	v_add_f16_e64 v11, v213, v11
	s_delay_alu instid0(VALU_DEP_4) | instskip(SKIP_1) | instid1(VALU_DEP_4)
	v_add_f16_e32 v5, v12, v5
	v_mul_f16_e64 v12, 0x3722, v156
	v_add_f16_e64 v13, v187, v13
	s_delay_alu instid0(VALU_DEP_4) | instskip(SKIP_1) | instid1(VALU_DEP_4)
	v_add_f16_e32 v3, v11, v3
	v_mul_f16_e32 v11, 0x39e9, v51
	v_add_f16_e64 v12, v189, v12
	s_delay_alu instid0(VALU_DEP_4) | instskip(SKIP_1) | instid1(VALU_DEP_4)
	v_add_f16_e32 v9, v13, v9
	v_mul_f16_e32 v13, 0xbacd, v33
	v_sub_f16_e64 v11, v11, v131
	s_delay_alu instid0(VALU_DEP_3) | instskip(NEXT) | instid1(VALU_DEP_3)
	v_add_f16_e32 v9, v12, v9
	v_sub_f16_e32 v13, v13, v124
	v_mul_f16_e64 v12, 0xbbdd, v159
	s_delay_alu instid0(VALU_DEP_4) | instskip(SKIP_1) | instid1(VALU_DEP_4)
	v_add_f16_e32 v5, v11, v5
	v_mul_f16_e32 v11, 0xbbdd, v57
	v_add_f16_e32 v6, v13, v6
	v_mul_f16_e32 v13, 0x39e9, v46
	v_add_f16_e64 v12, v195, v12
	s_delay_alu instid0(VALU_DEP_4) | instskip(NEXT) | instid1(VALU_DEP_3)
	v_sub_f16_e64 v11, v11, v133
	v_sub_f16_e32 v13, v13, v125
	s_delay_alu instid0(VALU_DEP_3) | instskip(NEXT) | instid1(VALU_DEP_3)
	v_add_f16_e32 v9, v12, v9
	v_add_f16_e32 v5, v11, v5
	v_mul_f16_e32 v11, 0x3722, v60
	v_mul_f16_e64 v12, 0x2de8, v164
	v_add_f16_e32 v6, v13, v6
	v_mul_f16_e32 v13, 0x3722, v47
	s_delay_alu instid0(VALU_DEP_4) | instskip(NEXT) | instid1(VALU_DEP_4)
	v_sub_f16_e64 v11, v11, v132
	v_add_f16_e64 v12, v199, v12
	s_delay_alu instid0(VALU_DEP_3) | instskip(NEXT) | instid1(VALU_DEP_3)
	v_sub_f16_e32 v13, v13, v126
	v_add_f16_e32 v5, v11, v5
	v_mul_f16_e32 v11, 0x2de8, v24
	s_delay_alu instid0(VALU_DEP_4) | instskip(NEXT) | instid1(VALU_DEP_4)
	v_add_f16_e32 v9, v12, v9
	v_add_f16_e32 v6, v13, v6
	v_mul_f16_e32 v13, 0xbbdd, v49
	v_mul_f16_e64 v12, 0x3b76, v170
	v_add_f16_e64 v11, v165, v11
	v_pack_b32_f16 v3, v5, v3
	v_perm_b32 v5, v85, v41, 0x5040100
	v_sub_f16_e32 v13, v13, v127
	v_add_f16_e64 v12, v202, v12
	v_add_f16_e32 v11, v11, v19
	s_delay_alu instid0(VALU_DEP_3) | instskip(SKIP_1) | instid1(VALU_DEP_3)
	v_add_f16_e32 v6, v13, v6
	v_mul_f16_e32 v13, 0x2de8, v51
	v_add_f16_e32 v11, v14, v11
	v_mul_f16_e32 v14, 0xb461, v30
	v_add_f16_e32 v9, v12, v9
	v_mul_f16_e64 v12, 0xb8d2, v168
	v_sub_f16_e64 v13, v13, v128
	s_delay_alu instid0(VALU_DEP_4) | instskip(NEXT) | instid1(VALU_DEP_3)
	v_add_f16_e64 v14, v172, v14
	v_add_f16_e64 v12, v208, v12
	s_delay_alu instid0(VALU_DEP_3) | instskip(SKIP_1) | instid1(VALU_DEP_4)
	v_add_f16_e32 v6, v13, v6
	v_mul_f16_e64 v13, 0x3b76, v156
	v_add_f16_e32 v11, v14, v11
	v_mul_f16_e32 v14, 0xbbdd, v33
	v_add_f16_e32 v9, v12, v9
	v_mul_f16_e32 v12, 0x3b76, v57
	v_add_f16_e64 v13, v182, v13
	s_delay_alu instid0(VALU_DEP_4) | instskip(NEXT) | instid1(VALU_DEP_3)
	v_sub_f16_e32 v14, v14, v67
	v_sub_f16_e64 v12, v12, v129
	s_delay_alu instid0(VALU_DEP_3) | instskip(SKIP_1) | instid1(VALU_DEP_4)
	v_add_f16_e32 v11, v13, v11
	v_mul_f16_e64 v13, 0x3722, v159
	v_add_f16_e32 v7, v14, v7
	v_mul_f16_e32 v14, 0xb461, v46
	v_add_f16_e32 v6, v12, v6
	v_mul_f16_e32 v12, 0xb8d2, v60
	v_add_f16_e64 v13, v186, v13
	s_delay_alu instid0(VALU_DEP_4) | instskip(NEXT) | instid1(VALU_DEP_3)
	v_sub_f16_e32 v14, v14, v68
	v_sub_f16_e64 v12, v12, v130
	s_delay_alu instid0(VALU_DEP_3) | instskip(SKIP_1) | instid1(VALU_DEP_4)
	v_add_f16_e32 v11, v13, v11
	v_mul_f16_e64 v13, 0xbacd, v164
	v_add_f16_e32 v7, v14, v7
	v_mul_f16_e32 v14, 0x3b76, v47
	v_add_f16_e32 v6, v12, v6
	v_mul_f16_e32 v12, 0x3722, v24
	v_add_f16_e64 v13, v188, v13
	s_delay_alu instid0(VALU_DEP_4) | instskip(NEXT) | instid1(VALU_DEP_4)
	v_sub_f16_e32 v14, v14, v69
	v_pack_b32_f16 v6, v6, v9
	s_delay_alu instid0(VALU_DEP_4) | instskip(NEXT) | instid1(VALU_DEP_4)
	v_add_f16_e64 v12, v154, v12
	v_add_f16_e32 v11, v13, v11
	v_mul_f16_e64 v13, 0xb8d2, v170
	v_add_f16_e32 v7, v14, v7
	v_mul_f16_e32 v14, 0x3722, v49
	v_add_f16_e32 v12, v12, v19
	s_delay_alu instid0(VALU_DEP_4) | instskip(NEXT) | instid1(VALU_DEP_3)
	v_add_f16_e64 v13, v192, v13
	v_sub_f16_e32 v14, v14, v70
	s_delay_alu instid0(VALU_DEP_3) | instskip(SKIP_1) | instid1(VALU_DEP_4)
	v_add_f16_e32 v12, v15, v12
	v_mul_f16_e32 v15, 0xbbdd, v30
	v_add_f16_e32 v11, v13, v11
	v_mul_f16_e64 v13, 0x39e9, v168
	v_add_f16_e32 v7, v14, v7
	v_mul_f16_e32 v14, 0xbacd, v51
	v_add_f16_e64 v15, v160, v15
	s_delay_alu instid0(VALU_DEP_4) | instskip(NEXT) | instid1(VALU_DEP_3)
	v_add_f16_e64 v13, v200, v13
	v_sub_f16_e32 v14, v14, v110
	s_delay_alu instid0(VALU_DEP_3) | instskip(SKIP_1) | instid1(VALU_DEP_4)
	v_add_f16_e32 v12, v15, v12
	v_mul_f16_e64 v15, 0xb461, v156
	v_add_f16_e32 v11, v13, v11
	v_mul_f16_e32 v13, 0xb8d2, v57
	v_add_f16_e32 v7, v14, v7
	v_mul_f16_e64 v14, 0x39e9, v159
	v_add_f16_e64 v15, v166, v15
	s_delay_alu instid0(VALU_DEP_4) | instskip(NEXT) | instid1(VALU_DEP_3)
	v_sub_f16_e32 v13, v13, v122
	v_add_f16_e64 v14, v171, v14
	s_delay_alu instid0(VALU_DEP_3) | instskip(SKIP_1) | instid1(VALU_DEP_4)
	v_add_f16_e32 v12, v15, v12
	v_mul_f16_e32 v15, 0xb8d2, v33
	v_add_f16_e32 v7, v13, v7
	v_mul_f16_e32 v13, 0x39e9, v60
	s_delay_alu instid0(VALU_DEP_4) | instskip(SKIP_1) | instid1(VALU_DEP_3)
	v_add_f16_e32 v12, v14, v12
	v_mul_f16_e64 v14, 0x3b76, v164
	v_sub_f16_e32 v13, v13, v123
	s_delay_alu instid0(VALU_DEP_2) | instskip(NEXT) | instid1(VALU_DEP_2)
	v_add_f16_e64 v14, v176, v14
	v_add_f16_e32 v7, v13, v7
	v_mul_f16_e32 v13, 0x39e9, v24
	s_delay_alu instid0(VALU_DEP_3) | instskip(SKIP_1) | instid1(VALU_DEP_4)
	v_add_f16_e32 v12, v14, v12
	v_mul_f16_e64 v14, 0x2de8, v170
	v_pack_b32_f16 v7, v7, v11
	s_delay_alu instid0(VALU_DEP_4) | instskip(SKIP_1) | instid1(VALU_DEP_4)
	v_add_f16_e32 v13, v23, v13
	v_mul_f16_e32 v23, 0x3b76, v60
	v_add_f16_e64 v14, v185, v14
	s_delay_alu instid0(VALU_DEP_3) | instskip(SKIP_2) | instid1(VALU_DEP_4)
	v_add_f16_e32 v13, v13, v19
	v_mul_f16_e32 v19, 0x2de8, v21
	v_bfi_b32 v21, 0xffff, v151, v183
	v_add_f16_e32 v12, v14, v12
	v_mul_f16_e64 v14, 0xbacd, v168
	s_delay_alu instid0(VALU_DEP_4) | instskip(SKIP_4) | instid1(VALU_DEP_3)
	v_add_f16_e32 v19, v20, v19
	scratch_load_b32 v20, off, off offset:76 th:TH_LOAD_LU ; 4-byte Folded Reload
	v_add_f16_e64 v14, v190, v14
	v_add_f16_e32 v13, v19, v13
	v_mul_f16_e32 v19, 0xb8d2, v30
	v_add_f16_e32 v12, v14, v12
	v_mul_f16_e32 v14, 0x3b76, v51
	s_delay_alu instid0(VALU_DEP_3) | instskip(NEXT) | instid1(VALU_DEP_2)
	v_add_f16_e32 v19, v29, v19
	v_sub_f16_e32 v14, v14, v63
	s_delay_alu instid0(VALU_DEP_2) | instskip(SKIP_3) | instid1(VALU_DEP_1)
	v_add_f16_e32 v13, v19, v13
	v_mul_f16_e32 v19, 0x2de8, v33
	s_wait_loadcnt 0x1
	v_sub_f16_e32 v15, v15, v31
	v_add_f16_e32 v8, v15, v8
	v_mul_f16_e32 v15, 0xbbdd, v46
	s_delay_alu instid0(VALU_DEP_1) | instskip(NEXT) | instid1(VALU_DEP_1)
	v_sub_f16_e32 v15, v15, v58
	v_add_f16_e32 v8, v15, v8
	v_mul_f16_e32 v15, 0xb461, v47
	s_delay_alu instid0(VALU_DEP_1) | instskip(NEXT) | instid1(VALU_DEP_1)
	v_sub_f16_e32 v15, v15, v61
	v_add_f16_e32 v8, v15, v8
	v_mul_f16_e32 v15, 0x39e9, v49
	s_delay_alu instid0(VALU_DEP_1) | instskip(NEXT) | instid1(VALU_DEP_1)
	v_sub_f16_e32 v15, v15, v62
	v_add_f16_e32 v8, v15, v8
	v_mul_f16_e64 v15, 0xbbdd, v156
	s_delay_alu instid0(VALU_DEP_2) | instskip(NEXT) | instid1(VALU_DEP_2)
	v_add_f16_e32 v8, v14, v8
	v_add_f16_e64 v15, v155, v15
	v_mul_f16_e32 v14, 0x2de8, v57
	s_delay_alu instid0(VALU_DEP_2) | instskip(SKIP_1) | instid1(VALU_DEP_3)
	v_add_f16_e32 v13, v15, v13
	v_mul_f16_e64 v15, 0xbacd, v159
	v_sub_f16_e32 v14, v14, v64
	s_delay_alu instid0(VALU_DEP_2) | instskip(NEXT) | instid1(VALU_DEP_2)
	v_add_f16_e64 v15, v158, v15
	v_add_f16_e32 v8, v14, v8
	v_mul_f16_e64 v14, 0xb461, v164
	s_delay_alu instid0(VALU_DEP_3) | instskip(SKIP_1) | instid1(VALU_DEP_3)
	v_add_f16_e32 v13, v15, v13
	v_mul_f16_e32 v15, 0xbbdd, v47
	v_add_f16_e64 v14, v163, v14
	s_delay_alu instid0(VALU_DEP_1) | instskip(SKIP_1) | instid1(VALU_DEP_1)
	v_add_f16_e32 v13, v14, v13
	v_mul_f16_e64 v14, 0x3722, v170
	v_add_f16_e64 v14, v169, v14
	s_delay_alu instid0(VALU_DEP_1)
	v_add_f16_e32 v13, v14, v13
	v_mul_f16_e32 v14, 0x39e9, v33
	s_wait_loadcnt 0x0
	v_sub_f16_e32 v19, v19, v20
	scratch_load_b32 v20, off, off offset:80 th:TH_LOAD_LU ; 4-byte Folded Reload
	v_add_f16_e32 v10, v19, v10
	v_mul_f16_e32 v19, 0xb8d2, v46
	s_wait_loadcnt 0x0
	s_delay_alu instid0(VALU_DEP_1) | instskip(SKIP_1) | instid1(VALU_DEP_2)
	v_sub_f16_e32 v19, v19, v20
	v_mul_f16_e32 v20, 0xb461, v51
	v_add_f16_e32 v10, v19, v10
	scratch_load_b32 v19, off, off offset:84 th:TH_LOAD_LU ; 4-byte Folded Reload
	v_sub_f16_e32 v20, v20, v75
	s_wait_loadcnt 0x0
	v_sub_f16_e32 v15, v15, v19
	scratch_load_b32 v19, off, off offset:92 th:TH_LOAD_LU ; 4-byte Folded Reload
	v_add_f16_e32 v10, v15, v10
	v_mul_f16_e32 v15, 0xbacd, v49
	s_wait_loadcnt 0x0
	s_delay_alu instid0(VALU_DEP_1) | instskip(SKIP_1) | instid1(VALU_DEP_2)
	v_sub_f16_e32 v15, v15, v19
	v_mul_f16_e32 v19, 0xbacd, v60
	v_add_f16_e32 v10, v15, v10
	v_bfi_b32 v15, 0xffff, v16, v173
	v_mul_f16_e32 v16, 0x3722, v46
	s_delay_alu instid0(VALU_DEP_4) | instskip(NEXT) | instid1(VALU_DEP_4)
	v_sub_f16_e32 v19, v19, v65
	v_add_f16_e32 v10, v20, v10
	s_delay_alu instid0(VALU_DEP_4)
	v_pk_add_f16 v14, v14, v15 neg_lo:[0,1] neg_hi:[0,1]
	v_alignbit_b32 v15, v17, v17, 16
	v_bfi_b32 v17, 0xffff, v18, v174
	v_bfi_b32 v18, 0xffff, v26, v178
	v_alignbit_b32 v20, v180, v180, 16
	v_add_f16_e32 v8, v19, v8
	v_pk_add_f16 v15, v15, v173
	v_pk_add_f16 v16, v16, v17 neg_lo:[0,1] neg_hi:[0,1]
	v_alignbit_b32 v17, v25, v25, 16
	s_delay_alu instid0(VALU_DEP_4) | instskip(NEXT) | instid1(VALU_DEP_4)
	v_pack_b32_f16 v8, v8, v12
	v_bfi_b32 v14, 0xffff, v14, v15
	v_mul_f16_e32 v15, 0x2de8, v47
	s_delay_alu instid0(VALU_DEP_4) | instskip(NEXT) | instid1(VALU_DEP_3)
	v_pk_add_f16 v17, v17, v174
	v_pk_add_f16 v0, v14, v0
	s_delay_alu instid0(VALU_DEP_3) | instskip(SKIP_1) | instid1(VALU_DEP_4)
	v_pk_add_f16 v15, v15, v18 neg_lo:[0,1] neg_hi:[0,1]
	v_alignbit_b32 v18, v28, v28, 16
	v_bfi_b32 v16, 0xffff, v16, v17
	v_mul_f16_e32 v14, 0xb461, v49
	v_bfi_b32 v17, 0xffff, v27, v177
	s_delay_alu instid0(VALU_DEP_4) | instskip(NEXT) | instid1(VALU_DEP_4)
	v_pk_add_f16 v18, v18, v178
	v_pk_add_f16 v0, v16, v0
	v_alignbit_b32 v16, v157, v157, 16
	s_delay_alu instid0(VALU_DEP_4) | instskip(SKIP_4) | instid1(VALU_DEP_4)
	v_pk_add_f16 v14, v14, v17 neg_lo:[0,1] neg_hi:[0,1]
	v_alignbit_b32 v17, v150, v150, 16
	v_bfi_b32 v15, 0xffff, v15, v18
	v_mul_f16_e32 v18, 0xb8d2, v51
	v_pk_add_f16 v16, v16, v183
	v_pk_add_f16 v17, v17, v177
	s_delay_alu instid0(VALU_DEP_4) | instskip(NEXT) | instid1(VALU_DEP_4)
	v_pk_add_f16 v0, v15, v0
	v_pk_add_f16 v18, v18, v21 neg_lo:[0,1] neg_hi:[0,1]
	v_mul_f16_e64 v21, 0x3b76, v168
	s_delay_alu instid0(VALU_DEP_4) | instskip(SKIP_1) | instid1(VALU_DEP_4)
	v_bfi_b32 v14, 0xffff, v14, v17
	v_mul_f16_e32 v17, 0xbacd, v57
	v_bfi_b32 v15, 0xffff, v18, v16
	v_bfi_b32 v16, 0xffff, v152, v179
	v_mul_f16_e32 v18, 0xbbdd, v60
	v_pk_add_f16 v0, v14, v0
	v_mul_f16_e32 v14, 0x3722, v57
	v_add_f16_e64 v21, v167, v21
	v_pk_add_f16 v16, v17, v16 neg_lo:[0,1] neg_hi:[0,1]
	v_alignbit_b32 v17, v161, v161, 16
	v_pk_add_f16 v0, v15, v0
	v_sub_f16_e32 v14, v14, v56
	v_add_f16_e32 v13, v21, v13
	s_delay_alu instid0(VALU_DEP_4) | instskip(NEXT) | instid1(VALU_DEP_3)
	v_pk_add_f16 v17, v17, v179
	v_add_f16_e32 v10, v14, v10
	v_sub_f16_e32 v14, v23, v59
	s_delay_alu instid0(VALU_DEP_3) | instskip(SKIP_1) | instid1(VALU_DEP_3)
	v_bfi_b32 v16, 0xffff, v16, v17
	v_bfi_b32 v17, 0xffff, v153, v175
	v_add_f16_e32 v10, v14, v10
	v_mul_u32_u24_e32 v14, 17, v22
	s_delay_alu instid0(VALU_DEP_4) | instskip(NEXT) | instid1(VALU_DEP_4)
	v_pk_add_f16 v0, v16, v0
	v_pk_add_f16 v15, v18, v17 neg_lo:[0,1] neg_hi:[0,1]
	v_pk_add_f16 v17, v20, v175
	v_pack_b32_f16 v10, v10, v13
	v_lshl_add_u32 v14, v14, 2, v74
	s_delay_alu instid0(VALU_DEP_3) | instskip(NEXT) | instid1(VALU_DEP_1)
	v_bfi_b32 v15, 0xffff, v15, v17
	v_pk_add_f16 v0, v15, v0
	ds_store_2addr_b32 v14, v1, v0 offset1:1
	ds_store_2addr_b32 v14, v10, v8 offset0:2 offset1:3
	ds_store_2addr_b32 v14, v7, v6 offset0:4 offset1:5
	;; [unrolled: 1-line block ×3, first 2 shown]
	v_perm_b32 v0, v118, v145, 0x5040100
	v_alignbit_b32 v1, v117, v118, 16
	v_perm_b32 v2, v116, v44, 0x5040100
	v_perm_b32 v3, v215, v43, 0x5040100
	;; [unrolled: 1-line block ×4, first 2 shown]
	v_bfi_b32 v8, 0xffff, v83, v145
	ds_store_2addr_b32 v14, v0, v1 offset0:8 offset1:9
	ds_store_2addr_b32 v14, v3, v2 offset0:10 offset1:11
	;; [unrolled: 1-line block ×4, first 2 shown]
	ds_store_b32 v14, v8 offset:64
.LBB0_7:
	s_wait_alu 0xfffe
	s_or_b32 exec_lo, exec_lo, s2
	v_add_co_u32 v28, null, v101, 34
	v_add_co_u32 v23, null, v101, 51
	v_add_co_u32 v45, null, 0x44, v101
	s_delay_alu instid0(VALU_DEP_3) | instskip(NEXT) | instid1(VALU_DEP_3)
	v_and_b32_e32 v4, 0xff, v28
	v_and_b32_e32 v5, 0xff, v23
	v_lshlrev_b32_e32 v24, 4, v101
	s_delay_alu instid0(VALU_DEP_4)
	v_and_b32_e32 v6, 0xff, v45
	global_wb scope:SCOPE_SE
	s_wait_storecnt_dscnt 0x0
	v_mul_lo_u16 v4, 0xf1, v4
	v_mul_lo_u16 v5, 0xf1, v5
	s_barrier_signal -1
	v_mul_lo_u16 v6, 0xf1, v6
	s_barrier_wait -1
	v_lshrrev_b16 v4, 12, v4
	global_inv scope:SCOPE_SE
	global_load_b128 v[0:3], v24, s[0:1]
	v_lshrrev_b16 v5, 12, v5
	v_lshrrev_b16 v6, 12, v6
	v_mul_lo_u16 v4, v4, 17
	v_add_nc_u32_e32 v69, 0x400, v72
	s_delay_alu instid0(VALU_DEP_4) | instskip(NEXT) | instid1(VALU_DEP_3)
	v_mul_lo_u16 v5, v5, 17
	v_sub_nc_u16 v29, v28, v4
	v_mul_lo_u16 v4, v6, 17
	s_delay_alu instid0(VALU_DEP_3) | instskip(NEXT) | instid1(VALU_DEP_3)
	v_sub_nc_u16 v26, v23, v5
	v_lshlrev_b16 v5, 2, v29
	s_delay_alu instid0(VALU_DEP_3) | instskip(SKIP_1) | instid1(VALU_DEP_4)
	v_sub_nc_u16 v25, v45, v4
	v_and_b32_e32 v29, 0xff, v29
	v_lshlrev_b16 v4, 2, v26
	s_delay_alu instid0(VALU_DEP_4) | instskip(NEXT) | instid1(VALU_DEP_4)
	v_and_b32_e32 v5, 0xfc, v5
	v_lshlrev_b16 v6, 2, v25
	s_delay_alu instid0(VALU_DEP_4) | instskip(NEXT) | instid1(VALU_DEP_4)
	v_lshl_add_u32 v113, v29, 2, v74
	v_and_b32_e32 v4, 0xfc, v4
	s_delay_alu instid0(VALU_DEP_4) | instskip(NEXT) | instid1(VALU_DEP_4)
	v_lshlrev_b32_e32 v5, 2, v5
	v_and_b32_e32 v6, 0xfc, v6
	s_delay_alu instid0(VALU_DEP_3)
	v_lshlrev_b32_e32 v4, 2, v4
	global_load_b128 v[12:15], v5, s[0:1]
	v_lshlrev_b32_e32 v5, 2, v6
	s_clause 0x1
	global_load_b128 v[8:11], v4, s[0:1]
	global_load_b128 v[4:7], v5, s[0:1]
	ds_load_2addr_b32 v[20:21], v72 offset1:17
	ds_load_2addr_b32 v[16:17], v72 offset0:68 offset1:85
	ds_load_2addr_b32 v[34:35], v72 offset0:170 offset1:187
	;; [unrolled: 1-line block ×7, first 2 shown]
	ds_load_b32 v63, v72 offset:1632
	ds_load_2addr_b32 v[55:56], v69 offset0:84 offset1:101
	ds_load_2addr_b32 v[57:58], v69 offset0:16 offset1:33
	;; [unrolled: 1-line block ×4, first 2 shown]
	global_wb scope:SCOPE_SE
	s_wait_loadcnt_dscnt 0x0
	s_barrier_signal -1
	s_barrier_wait -1
	global_inv scope:SCOPE_SE
	v_lshrrev_b32_e32 v33, 16, v20
	v_lshrrev_b32_e32 v64, 16, v17
	;; [unrolled: 1-line block ×29, first 2 shown]
	s_delay_alu instid0(VALU_DEP_4)
	v_mul_f16_e32 v100, v64, v123
	v_mul_f16_e32 v104, v17, v123
	;; [unrolled: 1-line block ×9, first 2 shown]
	v_mul_f16_e64 v128, v48, v123
	v_mul_f16_e64 v129, v68, v122
	;; [unrolled: 1-line block ×7, first 2 shown]
	v_fma_f16 v17, v17, v0, -v100
	v_fmac_f16_e32 v104, v64, v0
	v_fma_f16 v34, v34, v1, -v106
	v_fmac_f16_e32 v107, v65, v1
	;; [unrolled: 2-line block ×4, first 2 shown]
	v_fma_f16 v48, v48, v0, -v127
	v_fmac_f16_e64 v128, v67, v0
	v_fma_f16 v35, v35, v1, -v129
	v_fmac_f16_e64 v130, v68, v1
	;; [unrolled: 2-line block ×4, first 2 shown]
	v_add_f16_e32 v64, v20, v17
	v_add_f16_e32 v65, v34, v47
	v_sub_f16_e32 v66, v104, v126
	v_sub_f16_e32 v68, v17, v34
	;; [unrolled: 1-line block ×3, first 2 shown]
	v_add_f16_e32 v86, v17, v55
	v_sub_f16_e32 v88, v34, v17
	v_sub_f16_e32 v100, v47, v55
	v_add_f16_e32 v106, v33, v104
	v_add_f16_e32 v108, v107, v109
	v_sub_f16_e32 v127, v104, v107
	v_sub_f16_e64 v129, v126, v109
	v_add_f16_e64 v131, v104, v126
	v_sub_f16_e32 v104, v107, v104
	v_sub_f16_e64 v133, v109, v126
	v_add_f16_e64 v135, v21, v48
	v_add_f16_e64 v136, v35, v57
	;; [unrolled: 1-line block ×4, first 2 shown]
	v_sub_f16_e32 v67, v107, v109
	v_sub_f16_e32 v17, v17, v55
	;; [unrolled: 1-line block ×3, first 2 shown]
	v_sub_f16_e64 v137, v128, v134
	v_sub_f16_e64 v139, v48, v35
	v_add_f16_e64 v141, v48, v56
	v_sub_f16_e64 v142, v35, v48
	v_sub_f16_e32 v48, v48, v56
	v_sub_f16_e64 v147, v35, v57
	v_add_f16_e64 v150, v128, v134
	v_add_f16_e32 v34, v64, v34
	v_fma_f16 v64, -0.5, v65, v20
	v_add_f16_e32 v65, v68, v84
	v_fma_f16 v20, -0.5, v86, v20
	v_add_f16_e32 v68, v88, v100
	v_add_f16_e32 v84, v106, v107
	v_fma_f16 v86, -0.5, v108, v33
	v_add_f16_e64 v88, v127, v129
	v_add_f16_e64 v100, v104, v133
	;; [unrolled: 1-line block ×3, first 2 shown]
	v_fma_f16 v104, -0.5, v136, v21
	v_add_f16_e64 v108, v144, v130
	v_fma_f16 v127, -0.5, v146, v32
	v_sub_f16_e64 v138, v130, v132
	v_sub_f16_e64 v140, v56, v57
	;; [unrolled: 1-line block ×7, first 2 shown]
	v_fmac_f16_e64 v33, -0.5, v131
	v_fmac_f16_e64 v21, -0.5, v141
	v_fmac_f16_e64 v32, -0.5, v150
	v_add_f16_e32 v34, v34, v47
	v_fmamk_f16 v47, v66, 0x3b9c, v64
	v_fmac_f16_e32 v64, 0xbb9c, v66
	v_fma_f16 v130, 0xbb9c, v67, v20
	v_fmac_f16_e32 v20, 0x3b9c, v67
	v_add_f16_e32 v84, v84, v109
	v_fmamk_f16 v109, v17, 0xbb9c, v86
	v_fmac_f16_e32 v86, 0x3b9c, v17
	v_add_f16_e32 v35, v35, v57
	v_fma_f16 v57, 0x3b9c, v137, v104
	v_fmac_f16_e64 v104, 0xbb9c, v137
	v_add_f16_e64 v108, v108, v132
	v_fma_f16 v132, 0xbb9c, v48, v127
	v_fmac_f16_e32 v127, 0x3b9c, v48
	v_add_f16_e64 v106, v139, v140
	v_add_f16_e64 v129, v148, v149
	v_fma_f16 v131, 0x3b9c, v110, v33
	v_fmac_f16_e32 v33, 0xbb9c, v110
	v_fma_f16 v133, 0xbb9c, v138, v21
	v_fmac_f16_e64 v21, 0x3b9c, v138
	v_fma_f16 v135, 0x3b9c, v147, v32
	v_fmac_f16_e64 v32, 0xbb9c, v147
	v_fmac_f16_e32 v47, 0x38b4, v67
	v_fmac_f16_e32 v64, 0xb8b4, v67
	v_fmac_f16_e64 v130, 0x38b4, v66
	v_fmac_f16_e32 v20, 0xb8b4, v66
	v_fmac_f16_e32 v109, 0xb8b4, v110
	;; [unrolled: 1-line block ×3, first 2 shown]
	v_fmac_f16_e64 v57, 0x38b4, v138
	v_fmac_f16_e64 v104, 0xb8b4, v138
	v_fmac_f16_e64 v132, 0xb8b4, v147
	v_fmac_f16_e64 v127, 0x38b4, v147
	v_lshrrev_b32_e32 v216, 16, v12
	v_lshrrev_b32_e32 v214, 16, v13
	;; [unrolled: 1-line block ×8, first 2 shown]
	v_add_f16_e64 v107, v142, v143
	v_add_f16_e64 v128, v128, v151
	v_add_f16_e32 v34, v34, v55
	v_add_f16_e32 v55, v84, v126
	v_fmac_f16_e64 v131, 0xb8b4, v17
	v_fmac_f16_e32 v33, 0x38b4, v17
	v_add_f16_e32 v17, v35, v56
	v_fmac_f16_e64 v133, 0x38b4, v137
	v_fmac_f16_e64 v21, 0xb8b4, v137
	v_add_f16_e64 v35, v108, v134
	v_fmac_f16_e64 v135, 0xb8b4, v48
	v_fmac_f16_e32 v32, 0x38b4, v48
	v_fmac_f16_e32 v47, 0x34f2, v65
	;; [unrolled: 1-line block ×3, first 2 shown]
	v_fmac_f16_e64 v130, 0x34f2, v68
	v_fmac_f16_e32 v20, 0x34f2, v68
	v_fmac_f16_e32 v109, 0x34f2, v88
	;; [unrolled: 1-line block ×5, first 2 shown]
	v_fmac_f16_e64 v132, 0x34f2, v129
	v_fmac_f16_e64 v127, 0x34f2, v129
	v_lshrrev_b32_e32 v151, 16, v6
	v_lshrrev_b32_e32 v150, 16, v7
	v_mul_f16_e64 v48, v70, v216
	v_mul_f16_e64 v56, v49, v216
	;; [unrolled: 1-line block ×12, first 2 shown]
	v_fmac_f16_e64 v131, 0x34f2, v100
	v_fmac_f16_e32 v33, 0x34f2, v100
	v_fmac_f16_e64 v133, 0x34f2, v107
	v_fmac_f16_e32 v21, 0x34f2, v107
	v_fmac_f16_e64 v135, 0x34f2, v128
	v_fmac_f16_e64 v32, 0x34f2, v128
	v_lshrrev_b32_e32 v153, 16, v4
	v_lshrrev_b32_e32 v152, 16, v5
	v_mul_f16_e64 v100, v73, v157
	v_mul_f16_e64 v107, v76, v156
	;; [unrolled: 1-line block ×6, first 2 shown]
	v_fma_f16 v48, v49, v12, -v48
	v_fmac_f16_e32 v56, v70, v12
	v_fma_f16 v49, v50, v13, -v65
	v_fmac_f16_e32 v66, v71, v13
	;; [unrolled: 2-line block ×4, first 2 shown]
	v_fmac_f16_e32 v106, v73, v8
	v_fmac_f16_e32 v108, v76, v9
	;; [unrolled: 1-line block ×3, first 2 shown]
	v_fmac_f16_e64 v129, v96, v11
	v_mul_f16_e64 v134, v77, v153
	v_mul_f16_e64 v136, v53, v153
	;; [unrolled: 1-line block ×6, first 2 shown]
	v_fma_f16 v52, v52, v8, -v100
	v_fma_f16 v51, v51, v9, -v107
	;; [unrolled: 1-line block ×6, first 2 shown]
	v_add_f16_e32 v63, v18, v48
	v_add_f16_e32 v65, v49, v50
	v_sub_f16_e32 v71, v48, v49
	v_sub_f16_e32 v73, v58, v50
	v_add_f16_e32 v76, v48, v58
	v_add_f16_e32 v84, v66, v68
	v_sub_f16_e32 v92, v56, v66
	v_sub_f16_e32 v94, v88, v68
	v_add_f16_e32 v96, v56, v88
	v_add_f16_e64 v146, v108, v126
	v_add_f16_e64 v162, v106, v129
	v_fma_f16 v53, v53, v4, -v134
	v_fmac_f16_e64 v136, v77, v4
	v_fma_f16 v46, v46, v5, -v137
	v_fmac_f16_e64 v138, v79, v5
	v_fmac_f16_e64 v142, v81, v7
	v_sub_f16_e32 v67, v56, v88
	v_sub_f16_e32 v70, v66, v68
	;; [unrolled: 1-line block ×4, first 2 shown]
	v_add_f16_e32 v81, v31, v56
	v_sub_f16_e32 v90, v49, v50
	v_add_f16_e32 v100, v19, v52
	v_sub_f16_e64 v110, v106, v129
	v_sub_f16_e64 v134, v52, v51
	;; [unrolled: 1-line block ×3, first 2 shown]
	v_add_f16_e64 v144, v30, v106
	v_sub_f16_e64 v147, v51, v59
	v_sub_f16_e64 v148, v106, v108
	v_sub_f16_e32 v106, v108, v106
	v_sub_f16_e64 v163, v126, v129
	v_add_f16_e32 v49, v63, v49
	v_fma_f16 v63, -0.5, v65, v18
	v_add_f16_e32 v65, v71, v73
	v_fma_f16 v18, -0.5, v76, v18
	v_fma_f16 v73, -0.5, v84, v31
	v_add_f16_e32 v76, v92, v94
	v_fmac_f16_e32 v31, -0.5, v96
	v_fma_f16 v92, -0.5, v146, v30
	v_fmac_f16_e64 v30, -0.5, v162
	v_fmac_f16_e64 v140, v98, v6
	v_sub_f16_e32 v48, v48, v58
	v_sub_f16_e32 v56, v66, v56
	;; [unrolled: 1-line block ×3, first 2 shown]
	v_add_f16_e32 v107, v51, v59
	v_add_f16_e64 v139, v52, v60
	v_sub_f16_e64 v141, v51, v52
	v_sub_f16_e32 v52, v52, v60
	v_add_f16_e64 v164, v16, v53
	v_add_f16_e64 v165, v46, v61
	v_add_f16_e32 v71, v77, v79
	v_add_f16_e32 v66, v81, v66
	;; [unrolled: 1-line block ×3, first 2 shown]
	v_add_f16_e64 v79, v134, v137
	v_add_f16_e64 v96, v106, v163
	v_add_f16_e32 v49, v49, v50
	v_fmamk_f16 v50, v67, 0x3b9c, v63
	v_fmac_f16_e32 v63, 0xbb9c, v67
	v_fmamk_f16 v100, v70, 0xbb9c, v18
	v_fmac_f16_e32 v18, 0x3b9c, v70
	;; [unrolled: 2-line block ×3, first 2 shown]
	v_fma_f16 v134, 0x3b9c, v147, v30
	v_fmac_f16_e64 v30, 0xbb9c, v147
	v_sub_f16_e64 v128, v108, v126
	v_sub_f16_e64 v166, v136, v142
	v_add_f16_e32 v56, v56, v98
	v_add_f16_e64 v84, v144, v108
	v_fma_f16 v98, -0.5, v165, v16
	v_add_f16_e32 v66, v66, v68
	v_add_f16_e32 v51, v51, v59
	v_fmamk_f16 v108, v52, 0xbb9c, v92
	v_fmac_f16_e32 v92, 0x3b9c, v52
	v_fmac_f16_e32 v50, 0x38b4, v70
	;; [unrolled: 1-line block ×7, first 2 shown]
	v_fmac_f16_e64 v134, 0xb8b4, v52
	v_fmac_f16_e32 v30, 0x38b4, v52
	v_add_f16_e64 v52, v164, v46
	v_add_f16_e32 v67, v53, v62
	v_sub_f16_e64 v143, v59, v60
	v_fmamk_f16 v68, v48, 0xbb9c, v73
	v_fmac_f16_e32 v73, 0x3b9c, v48
	v_add_f16_e32 v49, v49, v58
	v_add_f16_e32 v58, v66, v88
	;; [unrolled: 1-line block ×3, first 2 shown]
	v_fmac_f16_e32 v50, 0x34f2, v65
	v_fmac_f16_e32 v63, 0x34f2, v65
	;; [unrolled: 1-line block ×4, first 2 shown]
	v_fma_f16 v56, 0x3b9c, v166, v98
	v_sub_f16_e64 v60, v138, v140
	v_sub_f16_e32 v65, v53, v46
	v_sub_f16_e32 v66, v62, v61
	v_fmac_f16_e64 v98, 0xbb9c, v166
	v_add_f16_e32 v52, v52, v61
	v_fmac_f16_e32 v16, -0.5, v67
	v_sub_f16_e32 v67, v46, v53
	v_sub_f16_e32 v70, v61, v62
	v_fmac_f16_e32 v56, 0x38b4, v60
	v_add_f16_e32 v65, v65, v66
	v_fmac_f16_e32 v98, 0xb8b4, v60
	v_add_f16_e32 v52, v52, v62
	v_add_f16_e64 v66, v138, v140
	v_sub_f16_e32 v53, v53, v62
	v_add_f16_e32 v62, v67, v70
	v_add_f16_e64 v70, v136, v142
	v_fmac_f16_e32 v68, 0xb8b4, v90
	v_fmac_f16_e32 v73, 0x38b4, v90
	;; [unrolled: 1-line block ×4, first 2 shown]
	v_fmamk_f16 v65, v60, 0xbb9c, v16
	v_fmac_f16_e32 v16, 0x3b9c, v60
	v_add_f16_e64 v60, v27, v136
	v_fma_f16 v66, -0.5, v66, v27
	v_sub_f16_e32 v46, v46, v61
	v_fmac_f16_e32 v27, -0.5, v70
	v_fmac_f16_e32 v100, 0x34f2, v71
	v_fmac_f16_e32 v18, 0x34f2, v71
	;; [unrolled: 1-line block ×4, first 2 shown]
	v_fmamk_f16 v67, v53, 0xbb9c, v66
	v_fmac_f16_e32 v66, 0x3b9c, v53
	v_fmamk_f16 v70, v46, 0x3b9c, v27
	v_sub_f16_e64 v71, v138, v136
	v_sub_f16_e64 v76, v140, v142
	v_fmac_f16_e32 v27, 0xbb9c, v46
	v_fmac_f16_e32 v67, 0xb8b4, v46
	;; [unrolled: 1-line block ×4, first 2 shown]
	v_add_f16_e32 v46, v71, v76
	v_fmac_f16_e32 v27, 0x38b4, v53
	v_fma_f16 v77, -0.5, v107, v19
	v_pack_b32_f16 v34, v34, v55
	v_pack_b32_f16 v20, v20, v33
	v_fmac_f16_e32 v70, 0x34f2, v46
	v_fmac_f16_e32 v27, 0x34f2, v46
	v_pack_b32_f16 v46, v47, v109
	v_pack_b32_f16 v47, v130, v131
	v_fmac_f16_e64 v19, -0.5, v139
	v_sub_f16_e64 v149, v129, v126
	v_fmamk_f16 v59, v110, 0x3b9c, v77
	v_fmac_f16_e64 v65, 0x38b4, v166
	v_fmac_f16_e64 v16, 0xb8b4, v166
	ds_store_2addr_b32 v72, v34, v46 offset1:17
	ds_store_2addr_b32 v72, v47, v20 offset0:34 offset1:51
	v_pack_b32_f16 v20, v64, v86
	v_pack_b32_f16 v17, v17, v35
	;; [unrolled: 1-line block ×6, first 2 shown]
	v_fma_f16 v107, 0xbb9c, v128, v19
	v_fmac_f16_e64 v19, 0x3b9c, v128
	v_add_f16_e64 v94, v148, v149
	v_add_f16_e32 v84, v84, v126
	v_fmac_f16_e64 v59, 0x38b4, v128
	v_fmac_f16_e64 v108, 0xb8b4, v147
	v_add_f16_e64 v60, v60, v138
	v_fmac_f16_e32 v65, 0x34f2, v62
	v_fmac_f16_e32 v16, 0x34f2, v62
	v_sub_f16_e64 v61, v136, v138
	v_sub_f16_e64 v62, v142, v140
	ds_store_2addr_b32 v72, v20, v17 offset0:68 offset1:85
	ds_store_2addr_b32 v72, v33, v34 offset0:102 offset1:119
	v_and_b32_e32 v17, 0xff, v26
	ds_store_2addr_b32 v72, v21, v32 offset0:136 offset1:153
	v_pack_b32_f16 v20, v49, v58
	v_pack_b32_f16 v21, v50, v68
	v_add_f16_e64 v81, v141, v143
	v_fmac_f16_e32 v77, 0xbb9c, v110
	v_fmac_f16_e32 v107, 0x38b4, v110
	;; [unrolled: 1-line block ×3, first 2 shown]
	v_add_f16_e64 v51, v84, v129
	v_fmac_f16_e32 v59, 0x34f2, v79
	v_fmac_f16_e32 v108, 0x34f2, v94
	v_add_f16_e64 v60, v60, v140
	v_add_f16_e32 v61, v61, v62
	v_lshl_add_u32 v114, v17, 2, v74
	ds_store_2addr_b32 v113, v20, v21 offset0:170 offset1:187
	v_and_b32_e32 v20, 0xff, v25
	v_fmac_f16_e64 v77, 0xb8b4, v128
	v_fmac_f16_e64 v92, 0x38b4, v147
	v_fmac_f16_e32 v107, 0x34f2, v81
	v_fmac_f16_e32 v19, 0x34f2, v81
	v_fmac_f16_e64 v134, 0x34f2, v96
	v_fmac_f16_e32 v30, 0x34f2, v96
	v_pack_b32_f16 v17, v100, v106
	v_pack_b32_f16 v18, v18, v31
	v_add_f16_e64 v53, v60, v142
	v_fmac_f16_e32 v67, 0x34f2, v61
	v_pack_b32_f16 v26, v48, v51
	v_pack_b32_f16 v29, v59, v108
	v_add_nc_u32_e32 v31, 0x200, v114
	v_lshl_add_u32 v111, v20, 2, v74
	v_fmac_f16_e32 v77, 0x34f2, v79
	v_fmac_f16_e32 v92, 0x34f2, v94
	ds_store_2addr_b32 v113, v17, v18 offset0:204 offset1:221
	v_pack_b32_f16 v18, v107, v134
	v_pack_b32_f16 v19, v19, v30
	v_add_nc_u32_e32 v20, 0x400, v114
	v_fmac_f16_e32 v66, 0x34f2, v61
	ds_store_2addr_b32 v31, v26, v29 offset0:127 offset1:144
	v_pack_b32_f16 v21, v52, v53
	v_pack_b32_f16 v25, v56, v67
	v_add_nc_u32_e32 v26, 0x400, v111
	v_pack_b32_f16 v29, v65, v70
	v_pack_b32_f16 v16, v16, v27
	;; [unrolled: 1-line block ×3, first 2 shown]
	ds_store_2addr_b32 v20, v18, v19 offset0:33 offset1:50
	v_pack_b32_f16 v18, v77, v92
	v_pack_b32_f16 v19, v98, v66
	ds_store_2addr_b32 v26, v21, v25 offset0:84 offset1:101
	ds_store_2addr_b32 v26, v29, v16 offset0:118 offset1:135
	ds_store_b32 v113, v17 offset:952
	ds_store_b32 v114, v18 offset:1292
	;; [unrolled: 1-line block ×3, first 2 shown]
	v_lshlrev_b32_e32 v16, 4, v22
	v_lshlrev_b32_e32 v17, 4, v28
	global_wb scope:SCOPE_SE
	s_wait_dscnt 0x0
	s_barrier_signal -1
	s_barrier_wait -1
	global_inv scope:SCOPE_SE
	s_clause 0x2
	global_load_b128 v[24:27], v24, s[0:1] offset:272
	global_load_b128 v[32:35], v16, s[0:1] offset:272
	;; [unrolled: 1-line block ×3, first 2 shown]
	v_lshlrev_b32_e32 v16, 4, v23
	v_lshlrev_b32_e32 v17, 4, v45
	s_clause 0x1
	global_load_b128 v[20:23], v16, s[0:1] offset:272
	global_load_b128 v[16:19], v17, s[0:1] offset:272
	ds_load_2addr_b32 v[52:53], v72 offset1:17
	ds_load_2addr_b32 v[47:48], v72 offset0:68 offset1:85
	ds_load_2addr_b32 v[49:50], v72 offset0:170 offset1:187
	;; [unrolled: 1-line block ×11, first 2 shown]
	ds_load_b32 v51, v72 offset:1632
	s_add_nc_u64 s[0:1], s[12:13], 0x6a4
	s_wait_dscnt 0xc
	v_lshrrev_b32_e32 v57, 16, v52
	s_wait_dscnt 0xb
	v_lshrrev_b32_e32 v68, 16, v48
	s_wait_dscnt 0xa
	v_lshrrev_b32_e32 v70, 16, v49
	s_wait_dscnt 0x9
	v_lshrrev_b32_e32 v71, 16, v63
	s_wait_dscnt 0x8
	v_lshrrev_b32_e32 v73, 16, v64
	v_lshrrev_b32_e32 v81, 16, v65
	s_wait_dscnt 0x7
	v_lshrrev_b32_e32 v76, 16, v66
	v_lshrrev_b32_e32 v77, 16, v50
	s_wait_dscnt 0x4
	v_lshrrev_b32_e32 v86, 16, v166
	;; [unrolled: 3-line block ×3, first 2 shown]
	s_wait_dscnt 0x0
	v_lshrrev_b32_e32 v107, 16, v51
	v_lshrrev_b32_e32 v98, 16, v169
	;; [unrolled: 1-line block ×14, first 2 shown]
	s_wait_loadcnt 0x4
	v_lshrrev_b32_e32 v125, 16, v24
	v_lshrrev_b32_e32 v124, 16, v25
	;; [unrolled: 1-line block ×4, first 2 shown]
	s_wait_loadcnt 0x3
	v_lshrrev_b32_e32 v147, 16, v32
	v_lshrrev_b32_e32 v140, 16, v35
	s_wait_loadcnt 0x2
	v_lshrrev_b32_e32 v138, 16, v29
	s_wait_loadcnt 0x1
	v_lshrrev_b32_e32 v133, 16, v22
	v_lshrrev_b32_e32 v132, 16, v23
	s_wait_loadcnt 0x0
	v_lshrrev_b32_e32 v149, 16, v16
	v_lshrrev_b32_e32 v128, 16, v19
	v_mul_f16_e32 v108, v68, v125
	v_mul_f16_e32 v109, v48, v125
	;; [unrolled: 1-line block ×3, first 2 shown]
	v_mul_f16_e64 v174, v49, v124
	v_mul_f16_e64 v175, v71, v38
	;; [unrolled: 1-line block ×5, first 2 shown]
	v_lshrrev_b32_e32 v126, 16, v33
	v_lshrrev_b32_e32 v141, 16, v34
	v_lshrrev_b32_e32 v136, 16, v31
	v_lshrrev_b32_e32 v148, 16, v17
	v_mul_f16_e64 v180, v66, v147
	v_mul_f16_e64 v185, v81, v140
	;; [unrolled: 1-line block ×7, first 2 shown]
	v_fma_f16 v48, v48, v24, -v108
	v_fmac_f16_e32 v109, v68, v24
	v_fma_f16 v49, v49, v25, -v110
	v_fmac_f16_e64 v174, v70, v25
	v_fma_f16 v68, v63, v26, -v175
	v_fmac_f16_e64 v176, v71, v26
	;; [unrolled: 2-line block ×3, first 2 shown]
	v_lshrrev_b32_e32 v139, 16, v28
	v_lshrrev_b32_e32 v137, 16, v30
	;; [unrolled: 1-line block ×5, first 2 shown]
	v_mul_f16_e64 v179, v76, v147
	v_mul_f16_e64 v181, v77, v126
	;; [unrolled: 1-line block ×11, first 2 shown]
	v_fmac_f16_e64 v180, v76, v32
	v_fma_f16 v73, v65, v35, -v185
	v_fma_f16 v76, v166, v29, -v189
	v_fmac_f16_e64 v200, v96, v22
	v_fmac_f16_e64 v202, v98, v23
	v_fmac_f16_e32 v58, v100, v16
	v_fma_f16 v65, v51, v19, -v206
	v_add_f16_e32 v51, v52, v48
	v_sub_f16_e32 v96, v48, v49
	v_sub_f16_e32 v98, v70, v68
	v_add_f16_e32 v100, v48, v70
	v_add_f16_e64 v108, v174, v176
	v_add_f16_e64 v166, v109, v178
	v_mul_f16_e64 v182, v50, v126
	v_mul_f16_e64 v184, v162, v141
	;; [unrolled: 1-line block ×9, first 2 shown]
	v_fma_f16 v66, v66, v32, -v179
	v_fma_f16 v50, v50, v33, -v181
	;; [unrolled: 1-line block ×3, first 2 shown]
	v_fmac_f16_e64 v194, v90, v31
	v_fmac_f16_e32 v60, v104, v17
	v_fmac_f16_e32 v59, v107, v19
	v_add_f16_e32 v90, v49, v68
	v_sub_f16_e32 v104, v49, v48
	v_add_f16_e32 v107, v57, v109
	v_sub_f16_e32 v110, v49, v68
	v_add_f16_e32 v49, v51, v49
	v_add_f16_e32 v51, v96, v98
	v_fma_f16 v96, -0.5, v100, v52
	v_fma_f16 v100, -0.5, v108, v57
	v_fmac_f16_e64 v57, -0.5, v166
	v_mul_f16_e64 v188, v67, v139
	v_mul_f16_e64 v191, v88, v137
	;; [unrolled: 1-line block ×5, first 2 shown]
	v_fmac_f16_e64 v182, v77, v33
	v_fmac_f16_e64 v184, v79, v34
	;; [unrolled: 1-line block ×3, first 2 shown]
	v_fma_f16 v67, v67, v28, -v187
	v_fmac_f16_e64 v190, v86, v29
	v_fmac_f16_e64 v192, v88, v30
	;; [unrolled: 1-line block ×4, first 2 shown]
	v_fma_f16 v86, v172, v22, -v199
	v_fma_f16 v88, v169, v23, -v201
	;; [unrolled: 1-line block ×3, first 2 shown]
	v_sub_f16_e64 v92, v109, v178
	v_sub_f16_e64 v94, v174, v176
	v_sub_f16_e32 v48, v48, v70
	v_sub_f16_e64 v162, v109, v174
	v_sub_f16_e64 v109, v174, v109
	v_add_f16_e64 v169, v50, v71
	v_sub_f16_e64 v172, v66, v50
	v_sub_f16_e64 v173, v73, v71
	v_add_f16_e64 v175, v66, v73
	v_fma_f16 v90, -0.5, v90, v52
	v_add_f16_e64 v98, v107, v174
	v_fma_f16 v174, 0x3b9c, v110, v57
	v_fmac_f16_e32 v57, 0xbb9c, v110
	v_fmac_f16_e64 v188, v84, v28
	v_fma_f16 v77, v163, v30, -v191
	v_fma_f16 v79, v168, v31, -v193
	;; [unrolled: 1-line block ×4, first 2 shown]
	v_fmac_f16_e32 v61, v106, v18
	v_sub_f16_e32 v106, v68, v70
	v_sub_f16_e64 v163, v178, v176
	v_sub_f16_e64 v167, v176, v178
	v_add_f16_e64 v168, v53, v66
	v_sub_f16_e64 v171, v182, v184
	v_add_f16_e64 v183, v182, v184
	v_add_f16_e64 v191, v180, v186
	v_fma_f16 v107, -0.5, v169, v53
	v_add_f16_e64 v108, v172, v173
	v_fmac_f16_e64 v53, -0.5, v175
	v_add_f16_e32 v49, v49, v68
	v_fmamk_f16 v68, v92, 0x3b9c, v90
	v_fmac_f16_e32 v90, 0xbb9c, v92
	v_fma_f16 v172, 0xbb9c, v94, v96
	v_fmac_f16_e32 v96, 0x3b9c, v94
	v_fma_f16 v173, 0xbb9c, v48, v100
	v_fmac_f16_e32 v100, 0x3b9c, v48
	v_fmac_f16_e64 v174, 0xb8b4, v48
	v_fmac_f16_e32 v57, 0x38b4, v48
	v_add_f16_e32 v48, v45, v67
	v_fma_f16 v81, v170, v20, -v195
	v_sub_f16_e64 v170, v180, v186
	v_sub_f16_e64 v177, v50, v66
	;; [unrolled: 1-line block ×3, first 2 shown]
	v_add_f16_e64 v181, v56, v180
	v_sub_f16_e64 v185, v50, v71
	v_add_f16_e64 v195, v76, v77
	v_add_f16_e32 v52, v104, v106
	v_add_f16_e64 v104, v162, v163
	v_add_f16_e64 v106, v109, v167
	;; [unrolled: 1-line block ×3, first 2 shown]
	v_fma_f16 v163, -0.5, v183, v56
	v_fmac_f16_e64 v56, -0.5, v191
	v_add_f16_e64 v98, v98, v176
	v_fma_f16 v175, 0xbb9c, v171, v53
	v_fmac_f16_e64 v53, 0x3b9c, v171
	v_fmac_f16_e32 v68, 0x38b4, v94
	v_fmac_f16_e32 v90, 0xb8b4, v94
	v_fmac_f16_e64 v172, 0x38b4, v92
	v_fmac_f16_e32 v96, 0xb8b4, v92
	v_add_f16_e32 v48, v48, v76
	v_sub_f16_e32 v66, v66, v73
	v_add_f16_e64 v109, v177, v179
	v_add_f16_e32 v50, v50, v71
	v_fma_f16 v71, 0x3b9c, v170, v107
	v_fmac_f16_e64 v107, 0xbb9c, v170
	v_fma_f16 v177, 0x3b9c, v185, v56
	v_add_f16_e32 v70, v49, v70
	v_add_f16_e64 v92, v98, v178
	v_fmac_f16_e64 v173, 0xb8b4, v110
	v_fmac_f16_e32 v100, 0x38b4, v110
	v_fmac_f16_e64 v175, 0x38b4, v170
	v_fmac_f16_e64 v53, 0xb8b4, v170
	v_fmac_f16_e32 v68, 0x34f2, v51
	v_fmac_f16_e32 v90, 0x34f2, v51
	v_fmac_f16_e64 v172, 0x34f2, v52
	v_fmac_f16_e32 v96, 0x34f2, v52
	v_fmac_f16_e64 v174, 0x34f2, v106
	v_fmac_f16_e32 v57, 0x34f2, v106
	v_fma_f16 v98, -0.5, v195, v45
	v_sub_f16_e64 v49, v188, v194
	v_fmac_f16_e64 v56, 0xbb9c, v185
	v_sub_f16_e32 v51, v67, v76
	v_sub_f16_e32 v52, v79, v77
	v_add_f16_e32 v106, v67, v79
	v_add_f16_e32 v48, v48, v77
	v_fma_f16 v176, 0xbb9c, v66, v163
	v_fmac_f16_e64 v163, 0x3b9c, v66
	v_add_f16_e32 v73, v50, v73
	v_fmac_f16_e64 v71, 0x38b4, v171
	v_fmac_f16_e64 v107, 0xb8b4, v171
	v_fmac_f16_e64 v177, 0xb8b4, v66
	v_fmac_f16_e64 v173, 0x34f2, v104
	v_fmac_f16_e32 v100, 0x34f2, v104
	v_fmac_f16_e64 v175, 0x34f2, v109
	v_fmac_f16_e32 v53, 0x34f2, v109
	v_fmamk_f16 v104, v49, 0x3b9c, v98
	v_sub_f16_e64 v50, v190, v192
	v_fmac_f16_e32 v56, 0x38b4, v66
	v_add_f16_e32 v51, v51, v52
	v_fma_f16 v66, -0.5, v106, v45
	v_add_f16_e32 v106, v48, v79
	v_fmac_f16_e32 v98, 0xbb9c, v49
	v_sub_f16_e32 v45, v76, v67
	v_sub_f16_e32 v48, v77, v79
	v_add_f16_e64 v52, v55, v188
	v_add_f16_e64 v109, v190, v192
	v_fmac_f16_e32 v71, 0x34f2, v108
	v_fmac_f16_e32 v107, 0x34f2, v108
	v_fmac_f16_e32 v104, 0x38b4, v50
	v_fmamk_f16 v108, v50, 0xbb9c, v66
	v_fmac_f16_e32 v98, 0xb8b4, v50
	v_add_f16_e32 v45, v45, v48
	v_fmac_f16_e32 v66, 0x3b9c, v50
	v_add_f16_e64 v48, v52, v190
	v_fma_f16 v109, -0.5, v109, v55
	v_sub_f16_e32 v50, v67, v79
	v_sub_f16_e64 v187, v180, v182
	v_sub_f16_e64 v189, v186, v184
	v_fmac_f16_e32 v104, 0x34f2, v51
	v_fmac_f16_e32 v108, 0x38b4, v49
	;; [unrolled: 1-line block ×4, first 2 shown]
	v_add_f16_e64 v48, v48, v192
	v_fmamk_f16 v67, v50, 0xbb9c, v109
	v_add_f16_e64 v49, v188, v194
	v_sub_f16_e32 v51, v76, v77
	v_sub_f16_e64 v52, v188, v190
	v_sub_f16_e64 v76, v194, v192
	v_fmac_f16_e32 v109, 0x3b9c, v50
	v_add_f16_e64 v162, v181, v182
	v_add_f16_e64 v166, v187, v189
	v_fmac_f16_e64 v176, 0xb8b4, v185
	v_fmac_f16_e64 v163, 0x38b4, v185
	v_fmac_f16_e32 v108, 0x34f2, v45
	v_fmac_f16_e32 v66, 0x34f2, v45
	v_fmac_f16_e32 v55, -0.5, v49
	v_add_f16_e64 v77, v48, v194
	v_fmac_f16_e32 v67, 0xb8b4, v51
	v_add_f16_e32 v45, v52, v76
	v_sub_f16_e64 v48, v190, v188
	v_sub_f16_e64 v49, v192, v194
	v_add_f16_e32 v52, v84, v86
	v_fmac_f16_e32 v109, 0x38b4, v51
	v_add_f16_e32 v79, v46, v81
	v_sub_f16_e64 v180, v182, v180
	v_sub_f16_e64 v193, v184, v186
	v_add_f16_e64 v162, v162, v184
	v_fmac_f16_e64 v176, 0x34f2, v166
	v_fmac_f16_e64 v163, 0x34f2, v166
	v_fmamk_f16 v76, v51, 0x3b9c, v55
	v_fmac_f16_e32 v67, 0x34f2, v45
	v_add_f16_e32 v48, v48, v49
	v_fma_f16 v49, -0.5, v52, v46
	v_sub_f16_e64 v52, v196, v202
	v_fmac_f16_e32 v109, 0x34f2, v45
	v_fmac_f16_e32 v55, 0xbb9c, v51
	v_add_f16_e32 v45, v79, v84
	v_add_f16_e64 v166, v81, v88
	v_add_f16_e64 v167, v180, v193
	;; [unrolled: 1-line block ×3, first 2 shown]
	v_fmac_f16_e32 v76, 0xb8b4, v50
	v_fmamk_f16 v79, v52, 0x3b9c, v49
	v_sub_f16_e64 v51, v198, v200
	v_sub_f16_e32 v110, v81, v84
	v_sub_f16_e64 v162, v88, v86
	v_fmac_f16_e32 v55, 0x38b4, v50
	v_add_f16_e32 v45, v45, v86
	v_fmac_f16_e64 v46, -0.5, v166
	v_fmac_f16_e32 v49, 0xbb9c, v52
	v_add_f16_e64 v166, v165, v196
	v_fmac_f16_e64 v177, 0x34f2, v167
	v_fmac_f16_e64 v56, 0x34f2, v167
	v_fmac_f16_e32 v76, 0x34f2, v48
	v_fmac_f16_e32 v79, 0x38b4, v51
	v_add_f16_e64 v50, v110, v162
	v_fmac_f16_e32 v55, 0x34f2, v48
	v_add_f16_e64 v162, v45, v88
	v_fmamk_f16 v45, v51, 0xbb9c, v46
	v_sub_f16_e32 v48, v84, v81
	v_sub_f16_e32 v110, v86, v88
	v_fmac_f16_e32 v49, 0xb8b4, v51
	v_add_f16_e64 v167, v198, v200
	v_fmac_f16_e32 v46, 0x3b9c, v51
	v_add_f16_e64 v51, v166, v198
	v_fma_f16 v62, v62, v17, -v204
	v_fmac_f16_e32 v79, 0x34f2, v50
	v_fmac_f16_e32 v45, 0x38b4, v52
	v_add_f16_e32 v48, v48, v110
	v_fma_f16 v167, -0.5, v167, v165
	v_sub_f16_e32 v81, v81, v88
	v_fmac_f16_e32 v49, 0x34f2, v50
	v_fmac_f16_e32 v46, 0xb8b4, v52
	v_add_f16_e64 v50, v51, v200
	v_add_f16_e64 v51, v196, v202
	v_sub_f16_e32 v52, v84, v86
	v_sub_f16_e64 v84, v196, v198
	v_sub_f16_e64 v86, v202, v200
	v_fmac_f16_e32 v45, 0x34f2, v48
	v_fma_f16 v88, 0xbb9c, v81, v167
	v_fmac_f16_e32 v46, 0x34f2, v48
	v_fmac_f16_e64 v165, -0.5, v51
	v_add_f16_e64 v178, v50, v202
	v_add_f16_e32 v50, v84, v86
	v_fmac_f16_e64 v167, 0x3b9c, v81
	v_sub_f16_e64 v48, v198, v196
	v_sub_f16_e64 v51, v200, v202
	v_add_f16_e32 v84, v62, v63
	v_fmac_f16_e32 v88, 0xb8b4, v52
	v_fma_f16 v166, 0x3b9c, v52, v165
	v_fmac_f16_e64 v167, 0x38b4, v52
	v_add_f16_e32 v86, v48, v51
	v_fmac_f16_e64 v165, 0xbb9c, v52
	v_add_f16_e32 v51, v47, v64
	v_fma_f16 v48, -0.5, v84, v47
	v_sub_f16_e32 v84, v58, v59
	v_fmac_f16_e32 v88, 0x34f2, v50
	v_fmac_f16_e64 v166, 0xb8b4, v81
	v_fmac_f16_e64 v167, 0x34f2, v50
	;; [unrolled: 1-line block ×3, first 2 shown]
	v_add_f16_e32 v50, v51, v62
	v_fmamk_f16 v51, v84, 0x3b9c, v48
	v_sub_f16_e32 v81, v60, v61
	v_sub_f16_e32 v52, v64, v62
	;; [unrolled: 1-line block ×3, first 2 shown]
	v_fmac_f16_e32 v48, 0xbb9c, v84
	v_add_f16_e64 v168, v64, v65
	v_fmac_f16_e32 v51, 0x38b4, v81
	v_fmac_f16_e64 v166, 0x34f2, v86
	v_add_f16_e32 v52, v52, v110
	v_fmac_f16_e32 v48, 0xb8b4, v81
	v_fmac_f16_e64 v47, -0.5, v168
	v_add_f16_e32 v50, v50, v63
	v_fmac_f16_e64 v165, 0x34f2, v86
	v_fmac_f16_e32 v51, 0x34f2, v52
	v_fmac_f16_e32 v48, 0x34f2, v52
	v_fmamk_f16 v52, v81, 0xbb9c, v47
	v_fmac_f16_e32 v47, 0x3b9c, v81
	v_add_f16_e32 v86, v60, v61
	v_sub_f16_e32 v110, v62, v64
	v_sub_f16_e64 v169, v63, v65
	v_add_f16_e64 v81, v164, v58
	v_fmac_f16_e32 v52, 0x38b4, v84
	v_fmac_f16_e32 v47, 0xb8b4, v84
	v_add_f16_e32 v84, v58, v59
	v_add_f16_e32 v50, v50, v65
	v_fma_f16 v160, -0.5, v86, v164
	v_sub_f16_e32 v64, v64, v65
	v_add_f16_e64 v65, v110, v169
	v_add_f16_e32 v81, v81, v60
	v_sub_f16_e32 v62, v62, v63
	v_fmac_f16_e64 v164, -0.5, v84
	v_fma_f16 v120, 0xbb9c, v64, v160
	v_fmac_f16_e32 v52, 0x34f2, v65
	v_fmac_f16_e32 v47, 0x34f2, v65
	v_add_f16_e32 v63, v81, v61
	v_sub_f16_e32 v65, v58, v60
	v_sub_f16_e32 v81, v59, v61
	v_fmac_f16_e64 v160, 0x3b9c, v64
	v_fma_f16 v119, 0x3b9c, v62, v164
	v_sub_f16_e32 v58, v60, v58
	v_sub_f16_e32 v60, v61, v59
	v_fmac_f16_e64 v164, 0xbb9c, v62
	v_lshl_add_u32 v169, v101, 2, v74
	v_fmac_f16_e32 v120, 0xb8b4, v62
	v_add_f16_e32 v61, v65, v81
	v_fmac_f16_e64 v160, 0x38b4, v62
	v_fmac_f16_e32 v119, 0xb8b4, v64
	v_add_f16_e32 v58, v58, v60
	v_fmac_f16_e64 v164, 0x38b4, v64
	v_add_f16_e64 v146, v63, v59
	v_pack_b32_f16 v59, v68, v173
	v_pack_b32_f16 v63, v71, v176
	;; [unrolled: 1-line block ×6, first 2 shown]
	v_add_nc_u32_e32 v56, 0x200, v169
	v_fmac_f16_e32 v120, 0x34f2, v61
	v_fmac_f16_e64 v160, 0x34f2, v61
	v_pack_b32_f16 v61, v90, v100
	v_pack_b32_f16 v65, v107, v163
	v_add_nc_u32_e32 v68, 0x400, v169
	v_fmac_f16_e32 v119, 0x34f2, v58
	v_fmac_f16_e64 v164, 0x34f2, v58
	v_pack_b32_f16 v58, v70, v92
	v_pack_b32_f16 v62, v73, v94
	;; [unrolled: 1-line block ×3, first 2 shown]
	ds_store_2addr_b32 v169, v59, v63 offset0:85 offset1:102
	ds_store_2addr_b32 v169, v60, v64 offset0:170 offset1:187
	;; [unrolled: 1-line block ×5, first 2 shown]
	v_pack_b32_f16 v53, v104, v67
	v_pack_b32_f16 v56, v108, v76
	v_pack_b32_f16 v55, v66, v55
	v_pack_b32_f16 v57, v98, v109
	ds_store_b32 v72, v58
	ds_store_b32 v72, v53 offset:476
	ds_store_b32 v72, v56 offset:816
	;; [unrolled: 1-line block ×4, first 2 shown]
	v_pack_b32_f16 v53, v162, v178
	v_pack_b32_f16 v55, v79, v88
	;; [unrolled: 1-line block ×5, first 2 shown]
	ds_store_b32 v169, v53 offset:204
	ds_store_b32 v72, v55 offset:544
	;; [unrolled: 1-line block ×5, first 2 shown]
	v_pack_b32_f16 v53, v50, v146
	v_pack_b32_f16 v55, v51, v120
	;; [unrolled: 1-line block ×5, first 2 shown]
	ds_store_b32 v169, v53 offset:272
	ds_store_b32 v72, v55 offset:612
	;; [unrolled: 1-line block ×5, first 2 shown]
	global_wb scope:SCOPE_SE
	s_wait_dscnt 0x0
	s_barrier_signal -1
	s_barrier_wait -1
	global_inv scope:SCOPE_SE
	s_clause 0x10
	global_load_b32 v70, v[36:37], off offset:1700
	global_load_b32 v71, v54, s[0:1] offset:100
	global_load_b32 v73, v54, s[0:1] offset:200
	;; [unrolled: 1-line block ×16, first 2 shown]
	ds_load_2addr_b32 v[55:56], v72 offset1:25
	ds_load_2addr_b32 v[57:58], v72 offset0:50 offset1:75
	ds_load_2addr_b32 v[59:60], v72 offset0:100 offset1:125
	v_add_nc_u32_e32 v53, 0x200, v72
	ds_load_2addr_b32 v[61:62], v72 offset0:150 offset1:175
	ds_load_2addr_b32 v[63:64], v72 offset0:200 offset1:225
	ds_load_2addr_b32 v[65:66], v53 offset0:122 offset1:147
	ds_load_2addr_b32 v[67:68], v69 offset0:44 offset1:69
	ds_load_2addr_b32 v[162:163], v69 offset0:94 offset1:119
	ds_load_b32 v106, v72 offset:1600
	s_wait_dscnt 0x8
	v_lshrrev_b32_e32 v107, 16, v55
	v_lshrrev_b32_e32 v108, 16, v56
	s_wait_dscnt 0x7
	v_lshrrev_b32_e32 v109, 16, v57
	v_lshrrev_b32_e32 v172, 16, v58
	;; [unrolled: 3-line block ×5, first 2 shown]
	v_lshrrev_b32_e32 v178, 16, v64
	v_lshrrev_b32_e32 v179, 16, v65
	;; [unrolled: 1-line block ×4, first 2 shown]
	s_wait_dscnt 0x1
	v_lshrrev_b32_e32 v183, 16, v162
	s_wait_loadcnt 0x10
	v_lshrrev_b32_e32 v184, 16, v70
	s_wait_loadcnt 0xf
	;; [unrolled: 2-line block ×8, first 2 shown]
	v_lshrrev_b32_e32 v191, 16, v84
	v_mul_f16_e64 v199, v107, v184
	v_mul_f16_e64 v184, v55, v184
	;; [unrolled: 1-line block ×16, first 2 shown]
	v_fma_f16 v55, v55, v70, -v199
	v_fmac_f16_e64 v184, v107, v70
	v_fma_f16 v56, v56, v71, -v200
	v_fmac_f16_e64 v185, v108, v71
	;; [unrolled: 2-line block ×8, first 2 shown]
	v_pack_b32_f16 v55, v55, v184
	v_pack_b32_f16 v56, v56, v185
	s_wait_loadcnt 0x3
	v_lshrrev_b32_e32 v197, 16, v96
	v_pack_b32_f16 v57, v57, v186
	v_pack_b32_f16 v58, v58, v187
	v_lshrrev_b32_e32 v192, 16, v86
	v_lshrrev_b32_e32 v193, 16, v88
	v_pack_b32_f16 v59, v59, v188
	v_pack_b32_f16 v60, v60, v189
	v_lshrrev_b32_e32 v194, 16, v90
	;; [unrolled: 4-line block ×3, first 2 shown]
	s_wait_loadcnt 0x2
	v_lshrrev_b32_e32 v198, 16, v98
	ds_store_2addr_b32 v72, v55, v56 offset1:25
	ds_store_2addr_b32 v72, v57, v58 offset0:50 offset1:75
	ds_store_2addr_b32 v72, v59, v60 offset0:100 offset1:125
	;; [unrolled: 1-line block ×3, first 2 shown]
	v_lshrrev_b32_e32 v57, 16, v163
	s_wait_loadcnt 0x1
	v_lshrrev_b32_e32 v58, 16, v100
	v_mul_f16_e64 v212, v182, v197
	s_wait_dscnt 0x4
	v_lshrrev_b32_e32 v59, 16, v106
	s_wait_loadcnt 0x0
	v_lshrrev_b32_e32 v60, 16, v104
	v_mul_f16_e64 v207, v177, v192
	v_mul_f16_e64 v192, v63, v192
	;; [unrolled: 1-line block ×13, first 2 shown]
	v_mul_f16_e32 v62, v57, v58
	v_mul_f16_e64 v58, v163, v58
	v_fma_f16 v55, v68, v96, -v212
	v_mul_f16_e32 v68, v59, v60
	v_mul_f16_e32 v60, v106, v60
	v_fma_f16 v63, v63, v86, -v207
	v_fmac_f16_e64 v192, v177, v86
	v_fma_f16 v64, v64, v88, -v208
	v_fmac_f16_e64 v193, v178, v88
	v_fma_f16 v65, v65, v90, -v209
	v_fmac_f16_e64 v194, v179, v90
	v_fma_f16 v66, v66, v92, -v210
	v_fmac_f16_e64 v195, v180, v92
	v_fma_f16 v67, v67, v94, -v211
	v_fmac_f16_e64 v196, v181, v94
	v_fmac_f16_e64 v197, v182, v96
	v_fma_f16 v56, v162, v98, -v56
	v_fmac_f16_e64 v61, v183, v98
	v_fma_f16 v62, v163, v100, -v62
	v_fmac_f16_e32 v58, v57, v100
	v_fma_f16 v57, v106, v104, -v68
	v_fmac_f16_e32 v60, v59, v104
	v_pack_b32_f16 v63, v63, v192
	v_pack_b32_f16 v64, v64, v193
	;; [unrolled: 1-line block ×9, first 2 shown]
	ds_store_2addr_b32 v72, v63, v64 offset0:200 offset1:225
	ds_store_2addr_b32 v53, v65, v66 offset0:122 offset1:147
	;; [unrolled: 1-line block ×4, first 2 shown]
	ds_store_b32 v72, v57 offset:1600
	s_and_saveexec_b32 s2, vcc_lo
	s_cbranch_execz .LBB0_9
; %bb.8:
	s_wait_alu 0xfffe
	v_add_co_u32 v54, s0, s0, v54
	s_wait_alu 0xf1ff
	v_add_co_ci_u32_e64 v55, null, s1, 0, s0
	s_clause 0x10
	global_load_b32 v56, v[54:55], off offset:68
	global_load_b32 v68, v[54:55], off offset:168
	;; [unrolled: 1-line block ×17, first 2 shown]
	ds_load_b32 v54, v169 offset:68
	s_wait_dscnt 0x0
	v_lshrrev_b32_e32 v55, 16, v54
	s_wait_loadcnt 0x10
	v_lshrrev_b32_e32 v57, 16, v56
	s_wait_loadcnt 0xf
	;; [unrolled: 2-line block ×5, first 2 shown]
	v_lshrrev_b32_e32 v107, 16, v73
	v_mul_f16_e32 v58, v55, v57
	v_mul_f16_e32 v57, v54, v57
	s_wait_loadcnt 0xb
	v_lshrrev_b32_e32 v108, 16, v76
	s_wait_loadcnt 0xa
	v_lshrrev_b32_e32 v109, 16, v77
	;; [unrolled: 2-line block ×3, first 2 shown]
	v_fma_f16 v54, v54, v56, -v58
	v_fmac_f16_e32 v57, v55, v56
	s_wait_loadcnt 0x8
	v_lshrrev_b32_e32 v173, 16, v81
	s_wait_loadcnt 0x7
	v_lshrrev_b32_e32 v174, 16, v84
	;; [unrolled: 2-line block ×4, first 2 shown]
	v_pack_b32_f16 v54, v54, v57
	s_wait_loadcnt 0x4
	v_lshrrev_b32_e32 v177, 16, v90
	s_wait_loadcnt 0x3
	v_lshrrev_b32_e32 v178, 16, v92
	s_wait_loadcnt 0x2
	v_lshrrev_b32_e32 v179, 16, v94
	s_wait_loadcnt 0x1
	v_lshrrev_b32_e32 v180, 16, v96
	ds_store_b32 v169, v54 offset:68
	ds_load_2addr_b32 v[54:55], v72 offset0:42 offset1:67
	ds_load_2addr_b32 v[56:57], v72 offset0:92 offset1:117
	;; [unrolled: 1-line block ×8, first 2 shown]
	s_wait_loadcnt 0x0
	v_lshrrev_b32_e32 v181, 16, v98
	s_wait_dscnt 0x7
	v_lshrrev_b32_e32 v182, 16, v54
	v_lshrrev_b32_e32 v184, 16, v55
	s_wait_dscnt 0x6
	v_lshrrev_b32_e32 v186, 16, v56
	;; [unrolled: 3-line block ×5, first 2 shown]
	v_lshrrev_b32_e32 v200, 16, v63
	v_mul_f16_e64 v183, v54, v100
	v_mul_f16_e64 v185, v55, v104
	s_wait_dscnt 0x2
	v_lshrrev_b32_e32 v202, 16, v64
	v_lshrrev_b32_e32 v204, 16, v65
	s_wait_dscnt 0x1
	v_lshrrev_b32_e32 v206, 16, v66
	v_lshrrev_b32_e32 v208, 16, v67
	;; [unrolled: 3-line block ×3, first 2 shown]
	v_mul_f16_e64 v100, v182, v100
	v_mul_f16_e64 v104, v184, v104
	;; [unrolled: 1-line block ×24, first 2 shown]
	v_fmac_f16_e64 v183, v182, v68
	v_fmac_f16_e64 v185, v184, v70
	v_mul_f16_e64 v176, v202, v176
	v_mul_f16_e64 v177, v204, v177
	;; [unrolled: 1-line block ×6, first 2 shown]
	v_fma_f16 v54, v54, v68, -v100
	v_fma_f16 v55, v55, v70, -v104
	v_fmac_f16_e64 v187, v186, v71
	v_fmac_f16_e64 v189, v188, v73
	v_fma_f16 v56, v56, v71, -v106
	v_fma_f16 v57, v57, v73, -v107
	v_fmac_f16_e64 v191, v190, v76
	v_fmac_f16_e64 v193, v192, v77
	;; [unrolled: 4-line block ×5, first 2 shown]
	v_fmac_f16_e64 v207, v206, v92
	v_fmac_f16_e64 v209, v208, v94
	;; [unrolled: 1-line block ×4, first 2 shown]
	v_fma_f16 v64, v64, v88, -v176
	v_fma_f16 v65, v65, v90, -v177
	;; [unrolled: 1-line block ×6, first 2 shown]
	v_pack_b32_f16 v54, v54, v183
	v_pack_b32_f16 v55, v55, v185
	;; [unrolled: 1-line block ×16, first 2 shown]
	ds_store_2addr_b32 v72, v54, v55 offset0:42 offset1:67
	ds_store_2addr_b32 v72, v56, v57 offset0:92 offset1:117
	;; [unrolled: 1-line block ×8, first 2 shown]
.LBB0_9:
	s_wait_alu 0xfffe
	s_or_b32 exec_lo, exec_lo, s2
	global_wb scope:SCOPE_SE
	s_wait_dscnt 0x0
	s_barrier_signal -1
	s_barrier_wait -1
	global_inv scope:SCOPE_SE
	ds_load_2addr_b32 v[55:56], v72 offset1:25
	ds_load_2addr_b32 v[67:68], v72 offset0:50 offset1:75
	ds_load_2addr_b32 v[63:64], v72 offset0:100 offset1:125
	;; [unrolled: 1-line block ×7, first 2 shown]
	ds_load_b32 v173, v72 offset:1600
	v_lshrrev_b32_e32 v54, 16, v118
	s_and_saveexec_b32 s0, vcc_lo
	s_cbranch_execz .LBB0_11
; %bb.10:
	v_add_nc_u32_e32 v39, 0x400, v169
	ds_load_2addr_b32 v[45:46], v169 offset0:17 offset1:42
	ds_load_2addr_b32 v[49:50], v169 offset0:67 offset1:92
	;; [unrolled: 1-line block ×8, first 2 shown]
	ds_load_b32 v83, v169 offset:1668
	s_wait_dscnt 0x5
	v_lshrrev_b32_e32 v164, 16, v47
	v_lshrrev_b32_e32 v166, 16, v45
	;; [unrolled: 1-line block ×8, first 2 shown]
	s_wait_dscnt 0x4
	v_lshrrev_b32_e32 v118, 16, v53
	v_lshrrev_b32_e32 v117, 16, v54
	s_wait_dscnt 0x3
	v_lshrrev_b32_e32 v215, 16, v43
	v_lshrrev_b32_e32 v116, 16, v44
	;; [unrolled: 3-line block ×4, first 2 shown]
	s_wait_dscnt 0x0
	v_bfi_b32 v145, 0xffff, v53, v83
.LBB0_11:
	s_wait_alu 0xfffe
	s_or_b32 exec_lo, exec_lo, s0
	s_wait_dscnt 0x8
	v_pk_add_f16 v71, v55, v56
	s_wait_dscnt 0x0
	v_pk_add_f16 v175, v173, v56
	v_pk_add_f16 v174, v56, v173 neg_lo:[0,1] neg_hi:[0,1]
	v_lshrrev_b32_e32 v76, 16, v55
	v_add_nc_u32_e32 v143, 0x88, v72
	v_pk_add_f16 v71, v71, v67
	v_lshrrev_b32_e32 v79, 16, v175
	v_lshrrev_b32_e32 v77, 16, v174
	v_pk_mul_f16 v73, 0xb5c8, v174 op_sel_hi:[0,1]
	v_add_nc_u32_e32 v142, 0xcc, v72
	v_pk_add_f16 v71, v71, v68
	v_mul_f16_e32 v90, 0x2de8, v79
	v_mul_f16_e32 v92, 0xbbb2, v77
	v_pk_fma_f16 v56, 0x3b76, v175, v73 op_sel:[0,0,1] op_sel_hi:[0,1,0]
	v_pk_fma_f16 v172, 0x3b76, v175, v73 op_sel:[0,0,1] op_sel_hi:[0,1,0] neg_lo:[0,0,1] neg_hi:[0,0,1]
	v_pk_add_f16 v71, v71, v63
	v_fma_f16 v176, 0x3bf7, v174, v90
	v_fma_f16 v177, 0xb461, v175, v92
	v_mul_f16_e32 v73, 0xb964, v77
	v_mul_f16_e32 v81, 0x39e9, v79
	v_pk_add_f16 v71, v71, v64
	v_add_f16_e64 v181, v76, v176
	v_pk_add_f16 v176, v67, v70 neg_lo:[0,1] neg_hi:[0,1]
	v_add_f16_e64 v182, v55, v177
	v_pk_add_f16 v177, v70, v67
	v_pk_add_f16 v71, v71, v59
	v_mul_f16_e32 v86, 0x3722, v79
	v_lshrrev_b32_e32 v184, 16, v176
	v_mul_f16_e32 v94, 0xb461, v79
	v_mul_f16_e32 v96, 0xba62, v77
	v_pk_add_f16 v71, v71, v60
	v_mul_f16_e32 v98, 0xb8d2, v79
	v_bfi_b32 v100, 0xffff, v56, v172
	v_fma_f16 v104, 0x39e9, v175, v73
	v_mul_f16_e32 v79, 0xbacd, v79
	v_pk_add_f16 v71, v71, v57
	v_mul_f16_e64 v185, 0xbbf7, v184
	v_lshrrev_b32_e32 v186, 16, v177
	v_mul_f16_e32 v84, 0xbb29, v77
	v_fma_f16 v106, 0x3964, v174, v81
	v_pk_add_f16 v71, v71, v58
	v_fma_f16 v73, v175, 0x39e9, -v73
	v_fmac_f16_e64 v81, 0xb964, v174
	v_fma_f16 v108, 0x3b29, v174, v86
	v_fmac_f16_e64 v86, 0xbb29, v174
	v_pk_add_f16 v71, v71, v61
	v_fmac_f16_e64 v90, 0xbbf7, v174
	v_fma_f16 v178, 0x3bb2, v174, v94
	v_fmac_f16_e64 v94, 0xbbb2, v174
	v_fma_f16 v179, 0xb8d2, v175, v96
	v_pk_add_f16 v71, v71, v62
	v_fma_f16 v180, 0x3a62, v174, v98
	v_pk_add_f16 v100, v55, v100
	v_add_f16_e32 v104, v55, v104
	v_fmac_f16_e64 v98, 0xba62, v174
	v_pk_add_f16 v71, v71, v65
	v_fma_f16 v183, 0x3836, v174, v79
	v_fmac_f16_e64 v79, 0xb836, v174
	v_fma_f16 v188, 0x2de8, v177, v185
	v_mul_f16_e64 v189, 0x2de8, v186
	v_pk_add_f16 v71, v71, v66
	v_mul_f16_e32 v88, 0xbbf7, v77
	v_fma_f16 v107, 0x3722, v175, v84
	v_add_f16_e32 v106, v76, v106
	v_add_f16_e32 v73, v55, v73
	v_pk_add_f16 v71, v71, v69
	v_add_f16_e32 v81, v76, v81
	v_add_f16_e32 v108, v76, v108
	;; [unrolled: 1-line block ×4, first 2 shown]
	v_pk_add_f16 v71, v71, v70
	v_pk_mul_f16 v70, 0xb964, v176 op_sel_hi:[0,1]
	v_add_f16_e64 v178, v76, v178
	v_add_f16_e32 v98, v76, v98
	v_add_f16_e64 v183, v76, v183
	v_pk_add_f16 v173, v71, v173
	v_pk_fma_f16 v67, 0x39e9, v177, v70 op_sel:[0,0,1] op_sel_hi:[0,1,0]
	v_pk_fma_f16 v70, 0x39e9, v177, v70 op_sel:[0,0,1] op_sel_hi:[0,1,0] neg_lo:[0,0,1] neg_hi:[0,0,1]
	v_add_f16_e32 v71, v76, v94
	v_fma_f16 v94, v175, 0xb8d2, -v96
	v_add_f16_e64 v96, v55, v179
	v_add_f16_e64 v179, v76, v180
	v_bfi_b32 v187, 0xffff, v67, v70
	v_add_f16_e32 v76, v76, v79
	v_fma_f16 v185, v177, 0x2de8, -v185
	v_fma_f16 v109, 0x2de8, v175, v88
	v_add_f16_e32 v107, v55, v107
	v_pk_add_f16 v79, v187, v100
	v_add_f16_e64 v100, v188, v104
	v_fma_f16 v104, 0x3bf7, v176, v189
	v_mul_f16_e64 v187, 0xba62, v184
	v_fmac_f16_e64 v189, 0xbbf7, v176
	v_mul_f16_e64 v188, 0xb8d2, v186
	v_add_f16_e64 v73, v185, v73
	v_add_f16_e32 v104, v104, v106
	v_fma_f16 v106, 0xb8d2, v177, v187
	v_add_f16_e64 v81, v189, v81
	v_fma_f16 v185, 0x3a62, v176, v188
	v_mul_f16_e64 v189, 0xb1e1, v184
	v_fma_f16 v84, v175, 0x3722, -v84
	v_add_f16_e32 v109, v55, v109
	v_add_f16_e32 v106, v106, v107
	v_fma_f16 v107, v177, 0xb8d2, -v187
	v_add_f16_e64 v108, v185, v108
	v_fma_f16 v185, 0xbbdd, v177, v189
	v_mul_f16_e64 v187, 0xbbdd, v186
	v_fma_f16 v88, v175, 0x2de8, -v88
	v_add_f16_e32 v84, v55, v84
	v_fmac_f16_e64 v188, 0xba62, v176
	v_add_f16_e64 v109, v185, v109
	v_fma_f16 v185, 0x31e1, v176, v187
	v_fmac_f16_e64 v187, 0xb1e1, v176
	v_mul_f16_e64 v190, 0xbacd, v186
	v_add_f16_e32 v88, v55, v88
	v_add_f16_e32 v84, v107, v84
	v_add_f16_e64 v86, v188, v86
	v_mul_f16_e64 v107, 0x3836, v184
	v_fma_f16 v188, v177, 0xbbdd, -v189
	v_add_f16_e64 v181, v185, v181
	v_add_f16_e64 v90, v187, v90
	v_fma_f16 v185, 0xb836, v176, v190
	v_mul_f16_e64 v187, 0x3bb2, v184
	v_fma_f16 v92, v175, 0xb461, -v92
	v_fma_f16 v189, 0xbacd, v177, v107
	v_add_f16_e64 v88, v188, v88
	v_mul_f16_e64 v188, 0xb461, v186
	v_add_f16_e64 v185, v185, v178
	v_fma_f16 v178, 0xb461, v177, v187
	v_add_f16_e32 v92, v55, v92
	v_mul_f16_e32 v77, 0xb836, v77
	v_add_f16_e64 v182, v189, v182
	v_fma_f16 v107, v177, 0xbacd, -v107
	v_fma_f16 v189, 0xbbb2, v176, v188
	v_add_f16_e64 v96, v178, v96
	v_mul_f16_e64 v186, 0x3722, v186
	v_pk_add_f16 v178, v68, v69 neg_lo:[0,1] neg_hi:[0,1]
	v_add_f16_e32 v94, v55, v94
	v_fma_f16 v180, 0xbacd, v175, v77
	v_add_f16_e32 v92, v107, v92
	v_fma_f16 v107, v177, 0xb461, -v187
	v_add_f16_e64 v187, v189, v179
	v_mul_f16_e64 v184, 0x3b29, v184
	v_fmac_f16_e64 v188, 0x3bb2, v176
	v_fma_f16 v189, 0xbb29, v176, v186
	v_pk_add_f16 v179, v69, v68
	v_pk_mul_f16 v69, 0xbb29, v178 op_sel_hi:[0,1]
	v_add_f16_e64 v180, v55, v180
	v_fma_f16 v77, v175, 0xbacd, -v77
	v_fmac_f16_e64 v190, 0x3836, v176
	v_add_f16_e32 v94, v107, v94
	v_fma_f16 v107, 0x3722, v177, v184
	v_add_f16_e64 v98, v188, v98
	v_lshrrev_b32_e32 v188, 16, v178
	v_add_f16_e64 v183, v189, v183
	v_pk_fma_f16 v68, 0x3722, v179, v69 op_sel:[0,0,1] op_sel_hi:[0,1,0]
	v_pk_fma_f16 v69, 0x3722, v179, v69 op_sel:[0,0,1] op_sel_hi:[0,1,0] neg_lo:[0,0,1] neg_hi:[0,0,1]
	v_lshrrev_b32_e32 v189, 16, v179
	v_add_f16_e32 v77, v55, v77
	v_add_f16_e64 v71, v190, v71
	v_add_f16_e64 v107, v107, v180
	v_mul_f16_e64 v180, 0xba62, v188
	v_fma_f16 v184, v177, 0x3722, -v184
	v_fmac_f16_e64 v186, 0x3b29, v176
	v_bfi_b32 v190, 0xffff, v68, v69
	v_mul_f16_e64 v192, 0xb8d2, v189
	v_fma_f16 v191, 0xb8d2, v179, v180
	v_add_f16_e64 v77, v184, v77
	v_add_f16_e64 v76, v186, v76
	v_pk_add_f16 v79, v190, v79
	v_fma_f16 v184, 0x3a62, v178, v192
	v_mul_f16_e64 v186, 0x31e1, v188
	v_fma_f16 v180, v179, 0xb8d2, -v180
	v_mul_f16_e64 v190, 0xbbdd, v189
	v_add_f16_e64 v100, v191, v100
	v_add_f16_e64 v104, v184, v104
	v_fma_f16 v184, 0xbbdd, v179, v186
	v_add_f16_e64 v73, v180, v73
	v_fma_f16 v180, 0xb1e1, v178, v190
	v_mul_f16_e64 v191, 0x3bb2, v188
	v_fmac_f16_e64 v192, 0xba62, v178
	v_add_f16_e64 v106, v184, v106
	v_fma_f16 v184, v179, 0xbbdd, -v186
	v_add_f16_e64 v108, v180, v108
	v_fma_f16 v180, 0xb461, v179, v191
	v_mul_f16_e64 v186, 0xb461, v189
	v_fmac_f16_e64 v190, 0x31e1, v178
	v_add_f16_e64 v81, v192, v81
	v_add_f16_e64 v84, v184, v84
	v_add_f16_e64 v109, v180, v109
	v_fma_f16 v180, 0xbbb2, v178, v186
	v_fmac_f16_e64 v186, 0x3bb2, v178
	v_add_f16_e64 v86, v190, v86
	v_mul_f16_e64 v184, 0x3964, v188
	v_fma_f16 v190, v179, 0xb461, -v191
	v_mul_f16_e64 v192, 0x39e9, v189
	v_add_f16_e64 v90, v186, v90
	v_mul_f16_e64 v186, 0x3b76, v189
	v_fma_f16 v191, 0x39e9, v179, v184
	v_add_f16_e64 v193, v180, v181
	v_add_f16_e64 v88, v190, v88
	v_fma_f16 v180, 0xb964, v178, v192
	v_mul_f16_e64 v181, 0xb5c8, v188
	v_fma_f16 v184, v179, 0x39e9, -v184
	v_fma_f16 v190, 0x35c8, v178, v186
	v_fmac_f16_e64 v186, 0xb5c8, v178
	v_add_f16_e64 v185, v180, v185
	v_fma_f16 v180, 0x3b76, v179, v181
	v_add_f16_e64 v92, v184, v92
	v_fma_f16 v181, v179, 0x3b76, -v181
	v_add_f16_e64 v184, v190, v187
	v_mul_f16_e64 v187, 0xbbf7, v188
	v_mul_f16_e64 v188, 0x2de8, v189
	v_add_f16_e64 v96, v180, v96
	v_add_f16_e64 v94, v181, v94
	v_pk_add_f16 v180, v63, v66 neg_lo:[0,1] neg_hi:[0,1]
	v_fma_f16 v189, 0x2de8, v179, v187
	v_fma_f16 v190, 0x3bf7, v178, v188
	v_pk_add_f16 v181, v66, v63
	v_add_f16_e64 v98, v186, v98
	v_pk_mul_f16 v66, 0xbbf7, v180 op_sel_hi:[0,1]
	v_add_f16_e64 v107, v189, v107
	v_add_f16_e64 v189, v190, v183
	v_lshrrev_b32_e32 v190, 16, v181
	v_lshrrev_b32_e32 v186, 16, v180
	v_pk_fma_f16 v63, 0x2de8, v181, v66 op_sel:[0,0,1] op_sel_hi:[0,1,0]
	v_pk_fma_f16 v66, 0x2de8, v181, v66 op_sel:[0,0,1] op_sel_hi:[0,1,0] neg_lo:[0,0,1] neg_hi:[0,0,1]
	v_fma_f16 v187, v179, 0x2de8, -v187
	v_fmac_f16_e64 v188, 0xbbf7, v178
	v_mul_f16_e64 v194, 0xbbdd, v190
	v_add_f16_e64 v182, v191, v182
	v_fmac_f16_e64 v192, 0x3964, v178
	v_mul_f16_e64 v183, 0xb1e1, v186
	v_bfi_b32 v191, 0xffff, v63, v66
	v_add_f16_e64 v77, v187, v77
	v_add_f16_e64 v76, v188, v76
	v_fma_f16 v187, 0x31e1, v180, v194
	v_mul_f16_e64 v188, 0x3bb2, v186
	v_add_f16_e64 v71, v192, v71
	v_fma_f16 v192, 0xbbdd, v181, v183
	v_pk_add_f16 v79, v191, v79
	v_fma_f16 v183, v181, 0xbbdd, -v183
	v_mul_f16_e64 v191, 0xb461, v190
	v_add_f16_e64 v104, v187, v104
	v_fma_f16 v187, 0xb461, v181, v188
	v_add_f16_e64 v100, v192, v100
	v_add_f16_e64 v73, v183, v73
	v_fma_f16 v183, 0xbbb2, v180, v191
	v_mul_f16_e64 v192, 0x35c8, v186
	v_add_f16_e64 v106, v187, v106
	v_fma_f16 v187, v181, 0xb461, -v188
	v_fmac_f16_e64 v194, 0xb1e1, v180
	v_fmac_f16_e64 v191, 0x3bb2, v180
	v_add_f16_e64 v108, v183, v108
	v_fma_f16 v183, 0x3b76, v181, v192
	v_mul_f16_e64 v188, 0x3b76, v190
	v_add_f16_e64 v84, v187, v84
	v_mul_f16_e64 v187, 0xbb29, v186
	v_add_f16_e64 v81, v194, v81
	v_add_f16_e64 v86, v191, v86
	;; [unrolled: 1-line block ×3, first 2 shown]
	v_fma_f16 v183, 0xb5c8, v180, v188
	v_fma_f16 v191, v181, 0x3b76, -v192
	v_fmac_f16_e64 v188, 0x35c8, v180
	v_fma_f16 v192, 0x3722, v181, v187
	v_mul_f16_e64 v194, 0x3722, v190
	v_add_f16_e64 v193, v183, v193
	v_mul_f16_e64 v183, 0xb836, v186
	v_add_f16_e64 v90, v188, v90
	v_add_f16_e64 v188, v192, v182
	v_fma_f16 v182, 0x3b29, v180, v194
	v_add_f16_e64 v88, v191, v88
	v_mul_f16_e64 v191, 0xbacd, v190
	v_fma_f16 v187, v181, 0x3722, -v187
	v_mul_f16_e64 v186, 0x3a62, v186
	v_add_f16_e64 v185, v182, v185
	v_fma_f16 v182, 0xbacd, v181, v183
	v_fma_f16 v192, 0x3836, v180, v191
	v_add_f16_e64 v92, v187, v92
	v_fma_f16 v183, v181, 0xbacd, -v183
	v_mul_f16_e64 v187, 0xb8d2, v190
	v_add_f16_e64 v96, v182, v96
	v_pk_add_f16 v182, v64, v65 neg_lo:[0,1] neg_hi:[0,1]
	v_add_f16_e64 v184, v192, v184
	v_add_f16_e64 v94, v183, v94
	v_fmac_f16_e64 v191, 0xb836, v180
	v_fma_f16 v192, 0xba62, v180, v187
	v_pk_add_f16 v183, v65, v64
	v_pk_mul_f16 v65, 0xbbb2, v182 op_sel_hi:[0,1]
	v_fmac_f16_e64 v194, 0xbb29, v180
	v_fma_f16 v190, 0xb8d2, v181, v186
	v_add_f16_e64 v98, v191, v98
	v_lshrrev_b32_e32 v191, 16, v182
	v_add_f16_e64 v189, v192, v189
	v_pk_fma_f16 v64, 0xb461, v183, v65 op_sel:[0,0,1] op_sel_hi:[0,1,0]
	v_pk_fma_f16 v65, 0xb461, v183, v65 op_sel:[0,0,1] op_sel_hi:[0,1,0] neg_lo:[0,0,1] neg_hi:[0,0,1]
	v_lshrrev_b32_e32 v192, 16, v183
	v_add_f16_e64 v71, v194, v71
	v_add_f16_e64 v107, v190, v107
	v_mul_f16_e64 v190, 0x3836, v191
	v_fma_f16 v186, v181, 0xb8d2, -v186
	v_fmac_f16_e64 v187, 0x3a62, v180
	v_bfi_b32 v194, 0xffff, v64, v65
	v_mul_f16_e64 v196, 0xbacd, v192
	v_fma_f16 v195, 0xbacd, v183, v190
	v_add_f16_e64 v77, v186, v77
	v_add_f16_e64 v76, v187, v76
	v_pk_add_f16 v79, v194, v79
	v_fma_f16 v186, 0xb836, v182, v196
	v_mul_f16_e64 v187, 0x3964, v191
	v_fma_f16 v190, v183, 0xbacd, -v190
	v_mul_f16_e64 v194, 0x39e9, v192
	v_add_f16_e64 v100, v195, v100
	v_add_f16_e64 v104, v186, v104
	v_fma_f16 v186, 0x39e9, v183, v187
	v_add_f16_e64 v73, v190, v73
	v_fma_f16 v190, 0xb964, v182, v194
	v_mul_f16_e64 v195, 0xbb29, v191
	v_fmac_f16_e64 v196, 0x3836, v182
	v_add_f16_e64 v106, v186, v106
	v_fma_f16 v186, v183, 0x39e9, -v187
	v_add_f16_e64 v108, v190, v108
	v_fma_f16 v187, 0x3722, v183, v195
	v_mul_f16_e64 v190, 0x3722, v192
	v_add_f16_e64 v81, v196, v81
	v_fmac_f16_e64 v194, 0x3964, v182
	v_add_f16_e64 v84, v186, v84
	v_mul_f16_e64 v186, 0xb1e1, v191
	v_add_f16_e64 v109, v187, v109
	v_fma_f16 v187, 0x3b29, v182, v190
	v_fmac_f16_e64 v190, 0xbb29, v182
	v_mul_f16_e64 v196, 0xbbdd, v192
	v_add_f16_e64 v86, v194, v86
	v_fma_f16 v194, v183, 0x3722, -v195
	v_fma_f16 v195, 0xbbdd, v183, v186
	v_add_f16_e64 v187, v187, v193
	v_add_f16_e64 v90, v190, v90
	v_fma_f16 v190, 0x31e1, v182, v196
	v_mul_f16_e64 v193, 0x3bf7, v191
	v_fma_f16 v186, v183, 0xbbdd, -v186
	v_add_f16_e64 v88, v194, v88
	v_mul_f16_e64 v194, 0x2de8, v192
	v_add_f16_e64 v185, v190, v185
	v_fma_f16 v190, 0x2de8, v183, v193
	v_add_f16_e64 v92, v186, v92
	v_fma_f16 v186, v183, 0x2de8, -v193
	v_add_f16_e64 v188, v195, v188
	v_fma_f16 v195, 0xbbf7, v182, v194
	v_add_f16_e64 v96, v190, v96
	v_mul_f16_e64 v190, 0xb5c8, v191
	v_add_f16_e64 v94, v186, v94
	v_pk_add_f16 v186, v59, v62 neg_lo:[0,1] neg_hi:[0,1]
	v_mul_f16_e64 v191, 0x3b76, v192
	v_fmac_f16_e64 v194, 0x3bf7, v182
	v_fma_f16 v192, 0x3b76, v183, v190
	v_pk_add_f16 v59, v62, v59
	v_pk_mul_f16 v62, 0xba62, v186 op_sel_hi:[0,1]
	v_fmac_f16_e64 v196, 0xb1e1, v182
	v_add_f16_e64 v184, v195, v184
	v_fma_f16 v193, 0x35c8, v182, v191
	v_add_f16_e64 v98, v194, v98
	v_lshrrev_b32_e32 v194, 16, v186
	v_add_f16_e64 v107, v192, v107
	v_pk_fma_f16 v192, 0xb8d2, v59, v62 op_sel:[0,0,1] op_sel_hi:[0,1,0]
	v_pk_fma_f16 v62, 0xb8d2, v59, v62 op_sel:[0,0,1] op_sel_hi:[0,1,0] neg_lo:[0,0,1] neg_hi:[0,0,1]
	v_lshrrev_b32_e32 v195, 16, v59
	v_add_f16_e64 v71, v196, v71
	v_add_f16_e64 v189, v193, v189
	v_mul_f16_e64 v193, 0x3bb2, v194
	v_fma_f16 v190, v183, 0x3b76, -v190
	v_fmac_f16_e64 v191, 0xb5c8, v182
	v_bfi_b32 v196, 0xffff, v192, v62
	v_mul_f16_e64 v198, 0xb461, v195
	v_fma_f16 v197, 0xb461, v59, v193
	v_add_f16_e64 v77, v190, v77
	v_add_f16_e64 v76, v191, v76
	v_pk_add_f16 v79, v196, v79
	v_fma_f16 v190, 0xbbb2, v186, v198
	v_mul_f16_e64 v191, 0xb5c8, v194
	v_fma_f16 v193, v59, 0xb461, -v193
	v_mul_f16_e64 v196, 0x3b76, v195
	v_add_f16_e64 v100, v197, v100
	v_add_f16_e64 v104, v190, v104
	v_fma_f16 v190, 0x3b76, v59, v191
	v_add_f16_e64 v73, v193, v73
	v_fma_f16 v193, 0x35c8, v186, v196
	v_mul_f16_e64 v197, 0xb836, v194
	v_fmac_f16_e64 v198, 0x3bb2, v186
	v_add_f16_e64 v106, v190, v106
	v_fma_f16 v190, v59, 0x3b76, -v191
	v_add_f16_e64 v108, v193, v108
	v_fma_f16 v191, 0xbacd, v59, v197
	v_mul_f16_e64 v193, 0xbacd, v195
	v_add_f16_e64 v81, v198, v81
	v_fmac_f16_e64 v196, 0xb5c8, v186
	v_add_f16_e64 v84, v190, v84
	v_mul_f16_e64 v190, 0x3bf7, v194
	v_add_f16_e64 v109, v191, v109
	v_fma_f16 v191, 0x3836, v186, v193
	v_fmac_f16_e64 v193, 0xb836, v186
	v_mul_f16_e64 v198, 0x2de8, v195
	v_add_f16_e64 v86, v196, v86
	v_fma_f16 v196, v59, 0xbacd, -v197
	v_fma_f16 v197, 0x2de8, v59, v190
	v_add_f16_e64 v187, v191, v187
	v_add_f16_e64 v90, v193, v90
	v_fma_f16 v191, 0xbbf7, v186, v198
	v_mul_f16_e64 v193, 0xb964, v194
	v_fma_f16 v190, v59, 0x2de8, -v190
	v_add_f16_e64 v88, v196, v88
	v_mul_f16_e64 v196, 0x39e9, v195
	v_add_f16_e64 v185, v191, v185
	v_fma_f16 v191, 0x39e9, v59, v193
	v_add_f16_e64 v92, v190, v92
	v_fma_f16 v190, v59, 0x39e9, -v193
	v_add_f16_e64 v188, v197, v188
	v_fma_f16 v197, 0x3964, v186, v196
	v_add_f16_e64 v96, v191, v96
	v_mul_f16_e64 v191, 0xb1e1, v194
	v_add_f16_e64 v94, v190, v94
	v_pk_add_f16 v190, v60, v61 neg_lo:[0,1] neg_hi:[0,1]
	v_mul_f16_e64 v193, 0xbbdd, v195
	v_fmac_f16_e64 v196, 0xb964, v186
	v_fma_f16 v194, 0xbbdd, v59, v191
	v_pk_add_f16 v60, v61, v60
	v_pk_mul_f16 v61, 0xb836, v190 op_sel_hi:[0,1]
	v_fmac_f16_e64 v198, 0x3bf7, v186
	v_add_f16_e64 v184, v197, v184
	v_fma_f16 v195, 0x31e1, v186, v193
	v_add_f16_e64 v98, v196, v98
	v_lshrrev_b32_e32 v196, 16, v190
	v_add_f16_e64 v107, v194, v107
	v_pk_fma_f16 v194, 0xbacd, v60, v61 op_sel:[0,0,1] op_sel_hi:[0,1,0]
	v_pk_fma_f16 v61, 0xbacd, v60, v61 op_sel:[0,0,1] op_sel_hi:[0,1,0] neg_lo:[0,0,1] neg_hi:[0,0,1]
	v_lshrrev_b32_e32 v197, 16, v60
	v_add_f16_e64 v71, v198, v71
	v_add_f16_e64 v189, v195, v189
	v_mul_f16_e64 v195, 0x3b29, v196
	v_fma_f16 v191, v59, 0xbbdd, -v191
	v_fmac_f16_e64 v193, 0xb1e1, v186
	v_bfi_b32 v198, 0xffff, v194, v61
	v_mul_f16_e64 v200, 0x3722, v197
	v_fma_f16 v199, 0x3722, v60, v195
	v_add_f16_e64 v77, v191, v77
	v_add_f16_e64 v76, v193, v76
	v_pk_add_f16 v79, v198, v79
	v_fma_f16 v191, 0xbb29, v190, v200
	v_mul_f16_e64 v193, 0xbbf7, v196
	v_fma_f16 v195, v60, 0x3722, -v195
	v_mul_f16_e64 v198, 0x2de8, v197
	v_add_f16_e64 v100, v199, v100
	v_add_f16_e64 v104, v191, v104
	v_fma_f16 v191, 0x2de8, v60, v193
	v_add_f16_e64 v73, v195, v73
	v_fma_f16 v195, 0x3bf7, v190, v198
	v_mul_f16_e64 v199, 0x3a62, v196
	v_fmac_f16_e64 v200, 0x3b29, v190
	v_add_f16_e64 v106, v191, v106
	v_fma_f16 v191, v60, 0x2de8, -v193
	v_add_f16_e64 v108, v195, v108
	v_fma_f16 v193, 0xb8d2, v60, v199
	v_mul_f16_e64 v195, 0xb8d2, v197
	v_add_f16_e64 v81, v200, v81
	v_mul_f16_e64 v200, 0x3b76, v197
	v_fmac_f16_e64 v198, 0xbbf7, v190
	v_add_f16_e64 v109, v193, v109
	v_fma_f16 v193, 0xba62, v190, v195
	v_fmac_f16_e64 v195, 0x3a62, v190
	v_add_f16_e64 v84, v191, v84
	v_mul_f16_e64 v191, 0xb5c8, v196
	v_add_f16_e64 v86, v198, v86
	v_add_f16_e64 v187, v193, v187
	;; [unrolled: 1-line block ×3, first 2 shown]
	v_fma_f16 v193, 0x35c8, v190, v200
	v_mul_f16_e64 v195, 0xb1e1, v196
	v_fma_f16 v198, v60, 0xb8d2, -v199
	v_fma_f16 v199, 0x3b76, v60, v191
	v_fma_f16 v191, v60, 0x3b76, -v191
	v_add_f16_e64 v185, v193, v185
	v_fma_f16 v193, 0xbbdd, v60, v195
	v_add_f16_e64 v88, v198, v88
	v_mul_f16_e64 v198, 0xbbdd, v197
	v_add_f16_e64 v92, v191, v92
	v_fma_f16 v191, v60, 0xbbdd, -v195
	v_add_f16_e64 v96, v193, v96
	v_mul_f16_e64 v193, 0x3964, v196
	v_add_f16_e64 v188, v199, v188
	v_fma_f16 v199, 0x31e1, v190, v198
	v_add_f16_e64 v94, v191, v94
	v_pk_add_f16 v191, v57, v58 neg_lo:[0,1] neg_hi:[0,1]
	v_fma_f16 v196, 0x39e9, v60, v193
	v_fmac_f16_e64 v198, 0xb1e1, v190
	v_pk_add_f16 v57, v58, v57
	v_add_f16_e64 v184, v199, v184
	v_mul_f16_e64 v195, 0x39e9, v197
	v_add_f16_e64 v107, v196, v107
	v_lshrrev_b32_e32 v196, 16, v191
	v_add_f16_e64 v98, v198, v98
	v_fma_f16 v193, v60, 0x39e9, -v193
	v_lshrrev_b32_e32 v199, 16, v57
	v_fma_f16 v197, 0xb964, v190, v195
	v_mul_f16_e64 v198, 0x35c8, v196
	v_pk_mul_f16 v58, 0xb1e1, v191 op_sel_hi:[0,1]
	v_add_f16_e64 v77, v193, v77
	v_mul_f16_e64 v201, 0x3b76, v199
	v_fmac_f16_e64 v200, 0xb5c8, v190
	v_fma_f16 v193, 0x3b76, v57, v198
	v_add_f16_e64 v189, v197, v189
	v_pk_fma_f16 v197, 0xbbdd, v57, v58 op_sel:[0,0,1] op_sel_hi:[0,1,0]
	v_pk_fma_f16 v58, 0xbbdd, v57, v58 op_sel:[0,0,1] op_sel_hi:[0,1,0] neg_lo:[0,0,1] neg_hi:[0,0,1]
	v_fmac_f16_e64 v195, 0x3964, v190
	v_add_f16_e64 v100, v193, v100
	v_fma_f16 v193, 0xb5c8, v191, v201
	v_fma_f16 v198, v57, 0x3b76, -v198
	v_mul_f16_e64 v202, 0xbacd, v199
	v_add_f16_e64 v71, v200, v71
	v_bfi_b32 v200, 0xffff, v197, v58
	v_add_f16_e64 v76, v195, v76
	v_mul_f16_e64 v195, 0xb836, v196
	v_add_f16_e64 v104, v193, v104
	v_add_f16_e64 v73, v198, v73
	v_fma_f16 v193, 0x3836, v191, v202
	v_mul_f16_e64 v198, 0x3964, v196
	v_pk_add_f16 v79, v200, v79
	v_fma_f16 v200, 0xbacd, v57, v195
	v_fmac_f16_e64 v201, 0x35c8, v191
	v_add_f16_e64 v108, v193, v108
	v_fma_f16 v193, 0x39e9, v57, v198
	v_fma_f16 v195, v57, 0xbacd, -v195
	v_add_f16_e64 v106, v200, v106
	v_mul_f16_e64 v200, 0x39e9, v199
	v_add_f16_e64 v81, v201, v81
	v_add_f16_e64 v109, v193, v109
	v_fma_f16 v193, v57, 0x39e9, -v198
	v_add_f16_e64 v84, v195, v84
	v_fma_f16 v195, 0xb964, v191, v200
	v_mul_f16_e64 v201, 0xba62, v196
	v_fmac_f16_e64 v200, 0x3964, v191
	v_add_f16_e64 v88, v193, v88
	v_mul_f16_e64 v193, 0x3b29, v196
	v_add_f16_e64 v187, v195, v187
	v_fma_f16 v195, 0xb8d2, v57, v201
	v_add_f16_e64 v90, v200, v90
	v_fma_f16 v200, v57, 0xb8d2, -v201
	v_fma_f16 v201, 0x3722, v57, v193
	v_fma_f16 v193, v57, 0x3722, -v193
	v_mul_f16_e64 v196, 0xbbb2, v196
	v_mul_f16_e64 v198, 0xb8d2, v199
	v_pk_mul_f16 v175, 0xbbdd, v175 op_sel_hi:[0,1]
	v_add_f16_e64 v188, v195, v188
	v_add_f16_e64 v94, v193, v94
	v_fma_f16 v193, 0xb461, v57, v196
	v_fma_f16 v195, 0x3a62, v191, v198
	v_pack_b32_f16 v106, v106, v108
	v_pk_mul_f16 v108, 0x3b76, v177 op_sel_hi:[0,1]
	v_pk_mul_f16 v179, 0xbacd, v179 op_sel_hi:[0,1]
	v_add_f16_e64 v107, v193, v107
	v_pk_fma_f16 v193, 0xb1e1, v174, v175 op_sel:[0,0,1] op_sel_hi:[0,1,0]
	v_add_f16_e64 v185, v195, v185
	v_pk_fma_f16 v174, 0xb1e1, v174, v175 op_sel:[0,0,1] op_sel_hi:[0,1,0] neg_lo:[0,1,0] neg_hi:[0,1,0]
	v_pk_fma_f16 v175, 0x35c8, v176, v108 op_sel:[0,0,1] op_sel_hi:[0,1,0]
	v_pack_b32_f16 v100, v100, v104
	v_alignbit_b32 v177, s0, v193, 16
	v_pack_b32_f16 v104, v188, v185
	v_alignbit_b32 v185, s0, v55, 16
	v_pk_add_f16 v174, v55, v174 op_sel:[1,0] op_sel_hi:[0,1]
	v_alignbit_b32 v188, s0, v175, 16
	v_pk_add_f16 v177, v55, v177
	v_pk_fma_f16 v108, 0x35c8, v176, v108 op_sel:[0,0,1] op_sel_hi:[0,1,0] neg_lo:[0,1,0] neg_hi:[0,1,0]
	v_pk_fma_f16 v176, 0xb836, v178, v179 op_sel:[0,0,1] op_sel_hi:[0,1,0]
	v_pk_mul_f16 v181, 0x39e9, v181 op_sel_hi:[0,1]
	v_pk_add_f16 v185, v185, v193
	v_pk_add_f16 v177, v188, v177
	;; [unrolled: 1-line block ×3, first 2 shown]
	v_alignbit_b32 v174, s0, v176, 16
	v_pk_fma_f16 v178, 0xb836, v178, v179 op_sel:[0,0,1] op_sel_hi:[0,1,0] neg_lo:[0,1,0] neg_hi:[0,1,0]
	v_pk_fma_f16 v179, 0x3964, v180, v181 op_sel:[0,0,1] op_sel_hi:[0,1,0]
	v_pk_mul_f16 v183, 0xb8d2, v183 op_sel_hi:[0,1]
	v_bfi_b32 v56, 0xffff, v172, v56
	v_pk_add_f16 v175, v175, v185
	v_pk_add_f16 v174, v174, v177
	;; [unrolled: 1-line block ×3, first 2 shown]
	v_alignbit_b32 v177, s0, v179, 16
	v_pk_fma_f16 v178, 0x3964, v180, v181 op_sel:[0,0,1] op_sel_hi:[0,1,0] neg_lo:[0,1,0] neg_hi:[0,1,0]
	v_pk_fma_f16 v180, 0xba62, v182, v183 op_sel:[0,0,1] op_sel_hi:[0,1,0]
	v_pk_add_f16 v55, v55, v56
	v_bfi_b32 v56, 0xffff, v70, v67
	v_pk_add_f16 v175, v176, v175
	v_pk_add_f16 v174, v177, v174
	v_alignbit_b32 v176, s0, v180, 16
	v_pk_mul_f16 v59, 0x3722, v59 op_sel_hi:[0,1]
	v_pk_add_f16 v55, v56, v55
	v_bfi_b32 v56, 0xffff, v69, v68
	v_pk_add_f16 v108, v178, v108
	v_pk_fma_f16 v177, 0xba62, v182, v183 op_sel:[0,0,1] op_sel_hi:[0,1,0] neg_lo:[0,1,0] neg_hi:[0,1,0]
	v_pk_add_f16 v175, v179, v175
	v_pk_add_f16 v174, v176, v174
	v_pk_fma_f16 v176, 0x3b29, v186, v59 op_sel:[0,0,1] op_sel_hi:[0,1,0]
	v_pk_mul_f16 v60, 0xb461, v60 op_sel_hi:[0,1]
	v_fmac_f16_e64 v202, 0xb836, v191
	v_pk_add_f16 v55, v56, v55
	v_bfi_b32 v56, 0xffff, v66, v63
	v_fma_f16 v196, v57, 0xb461, -v196
	v_pk_add_f16 v108, v177, v108
	v_pk_add_f16 v172, v180, v175
	v_alignbit_b32 v175, s0, v176, 16
	v_pk_fma_f16 v59, 0x3b29, v186, v59 op_sel:[0,0,1] op_sel_hi:[0,1,0] neg_lo:[0,1,0] neg_hi:[0,1,0]
	v_pk_fma_f16 v177, 0xbbb2, v190, v60 op_sel:[0,0,1] op_sel_hi:[0,1,0]
	v_pk_mul_f16 v57, 0x2de8, v57 op_sel_hi:[0,1]
	v_add_f16_e64 v86, v202, v86
	v_fmac_f16_e64 v198, 0xba62, v191
	v_mul_f16_e64 v202, 0x3722, v199
	v_pk_add_f16 v55, v56, v55
	v_bfi_b32 v56, 0xffff, v65, v64
	v_pk_add_f16 v67, v175, v174
	v_pk_add_f16 v59, v59, v108
	v_alignbit_b32 v70, s0, v177, 16
	v_pk_add_f16 v68, v176, v172
	v_pk_fma_f16 v60, 0xbbb2, v190, v60 op_sel:[0,0,1] op_sel_hi:[0,1,0] neg_lo:[0,1,0] neg_hi:[0,1,0]
	v_pk_fma_f16 v69, 0x3bf7, v191, v57 op_sel:[0,0,1] op_sel_hi:[0,1,0]
	v_add_f16_e64 v71, v198, v71
	v_fma_f16 v195, 0xbb29, v191, v202
	v_mul_f16_e64 v198, 0xb461, v199
	v_pk_add_f16 v55, v56, v55
	v_bfi_b32 v56, 0xffff, v62, v192
	v_pk_add_f16 v67, v70, v67
	v_pk_add_f16 v59, v60, v59
	;; [unrolled: 1-line block ×3, first 2 shown]
	v_alignbit_b32 v63, s0, v69, 16
	v_pk_fma_f16 v57, 0x3bf7, v191, v57 op_sel:[0,0,1] op_sel_hi:[0,1,0] neg_lo:[0,1,0] neg_hi:[0,1,0]
	v_fmac_f16_e64 v202, 0x3b29, v191
	v_add_f16_e64 v184, v195, v184
	v_fma_f16 v195, 0x3bb2, v191, v198
	v_fmac_f16_e64 v198, 0xbbb2, v191
	v_pk_add_f16 v55, v56, v55
	v_bfi_b32 v56, 0xffff, v61, v194
	v_pk_add_f16 v63, v63, v67
	v_pk_add_f16 v57, v57, v59
	;; [unrolled: 1-line block ×3, first 2 shown]
	v_add_f16_e64 v96, v201, v96
	v_add_f16_e64 v98, v202, v98
	;; [unrolled: 1-line block ×6, first 2 shown]
	v_pk_add_f16 v55, v56, v55
	v_bfi_b32 v56, 0xffff, v58, v197
	v_add_nc_u32_e32 v127, 0x110, v72
	v_pack_b32_f16 v109, v109, v187
	v_alignbit_b32 v59, v59, v57, 16
	v_pack_b32_f16 v57, v63, v57
	v_pack_b32_f16 v107, v107, v189
	;; [unrolled: 1-line block ×7, first 2 shown]
	global_wb scope:SCOPE_SE
	s_barrier_signal -1
	s_barrier_wait -1
	global_inv scope:SCOPE_SE
	ds_store_2addr_b32 v121, v173, v79 offset1:1
	ds_store_2addr_b32 v121, v100, v106 offset0:2 offset1:3
	ds_store_2addr_b32 v121, v109, v104 offset0:4 offset1:5
	;; [unrolled: 1-line block ×3, first 2 shown]
	v_pack_b32_f16 v63, v73, v81
	v_pack_b32_f16 v64, v84, v86
	v_pk_add_f16 v55, v56, v55
	ds_store_2addr_b32 v121, v57, v59 offset0:8 offset1:9
	ds_store_2addr_b32 v121, v61, v60 offset0:10 offset1:11
	;; [unrolled: 1-line block ×4, first 2 shown]
	ds_store_b32 v121, v55 offset:64
	s_and_saveexec_b32 s0, vcc_lo
	s_cbranch_execz .LBB0_13
; %bb.12:
	v_add_f16_e32 v55, v46, v45
	v_sub_f16_e32 v56, v47, v44
	v_lshrrev_b32_e32 v60, 16, v145
	v_sub_f16_e32 v58, v51, v42
	v_add_f16_e32 v66, v83, v46
	v_add_f16_e32 v55, v49, v55
	v_sub_f16_e32 v46, v46, v83
	v_sub_f16_e64 v62, v165, v60
	v_add_f16_e64 v88, v78, v167
	v_add_f16_e64 v92, v80, v146
	v_add_f16_e32 v55, v50, v55
	v_add_f16_e32 v96, v82, v120
	v_mul_f16_e32 v64, 0xbb29, v62
	v_mul_f16_e32 v65, 0xb964, v62
	;; [unrolled: 1-line block ×3, first 2 shown]
	v_add_f16_e32 v55, v51, v55
	v_mul_f16_e32 v90, 0x3b76, v88
	v_fma_f16 v76, v66, 0x3722, -v64
	v_fmamk_f16 v73, v66, 0x3722, v64
	v_fmamk_f16 v64, v66, 0x39e9, v65
	v_add_f16_e32 v55, v52, v55
	v_fma_f16 v65, v66, 0x39e9, -v65
	v_fmamk_f16 v70, v66, 0xb461, v63
	v_fma_f16 v63, v66, 0xb461, -v63
	v_mul_f16_e32 v94, 0xbacd, v92
	v_add_f16_e32 v55, v47, v55
	v_add_f16_e32 v47, v44, v47
	v_mul_f16_e32 v98, 0x39e9, v96
	v_add_f16_e32 v86, v45, v63
	v_add_f16_e32 v100, v85, v119
	;; [unrolled: 1-line block ×3, first 2 shown]
	v_sub_f16_e64 v106, v167, v78
	v_sub_f16_e64 v109, v146, v80
	;; [unrolled: 1-line block ×3, first 2 shown]
	v_mul_f16_e32 v104, 0xb8d2, v100
	v_add_f16_e64 v55, v145, v55
	v_mul_f16_e32 v107, 0x35c8, v106
	v_mul_f16_e32 v121, 0xb836, v109
	v_mul_f16_e64 v174, 0x3964, v173
	v_sub_f16_e64 v175, v119, v85
	v_add_f16_e32 v55, v54, v55
	v_mul_f16_e64 v178, 0x3722, v88
	v_sub_f16_e64 v179, v164, v116
	v_mul_f16_e64 v181, 0x2de8, v92
	v_mul_f16_e64 v176, 0xba62, v175
	v_add_f16_e32 v57, v43, v55
	v_sub_f16_e32 v55, v48, v43
	v_add_f16_e32 v43, v43, v48
	v_add_f16_e32 v48, v42, v51
	v_sub_f16_e32 v51, v50, v39
	v_add_f16_e32 v59, v44, v57
	v_sub_f16_e32 v57, v52, v41
	v_add_f16_e32 v44, v41, v52
	v_add_f16_e32 v52, v40, v49
	v_mul_f16_e64 v180, 0x3b29, v179
	v_add_f16_e32 v41, v41, v59
	v_sub_f16_e32 v59, v49, v40
	v_add_f16_e32 v49, v39, v50
	v_mul_f16_e32 v50, 0xb1e1, v62
	v_add_f16_e64 v182, v117, v118
	v_add_f16_e32 v61, v42, v41
	v_sub_f16_e64 v42, v145, v54
	v_add_f16_e64 v41, v54, v145
	v_mul_f16_e32 v54, 0xb836, v62
	v_fmamk_f16 v67, v66, 0xbbdd, v50
	v_add_f16_e32 v39, v39, v61
	v_mul_f16_e32 v61, 0xba62, v62
	v_fma_f16 v50, v66, 0xbbdd, -v50
	v_fmamk_f16 v68, v66, 0xbacd, v54
	v_fma_f16 v54, v66, 0xbacd, -v54
	v_add_f16_e32 v39, v40, v39
	v_mul_f16_e32 v40, 0xbbf7, v62
	v_mul_f16_e32 v62, 0xb5c8, v62
	v_fmamk_f16 v69, v66, 0xb8d2, v61
	v_fma_f16 v61, v66, 0xb8d2, -v61
	s_clause 0x1
	scratch_store_b32 off, v39, off offset:76
	scratch_store_b32 off, v74, off offset:132
	v_fmamk_f16 v71, v66, 0x2de8, v40
	v_fma_f16 v40, v66, 0x2de8, -v40
	v_fmamk_f16 v77, v66, 0x3b76, v62
	v_fma_f16 v62, v66, 0x3b76, -v62
	v_add_f16_e32 v66, v45, v67
	v_add_f16_e32 v67, v45, v68
	;; [unrolled: 1-line block ×7, first 2 shown]
	scratch_store_b32 off, v39, off offset:108 ; 4-byte Folded Spill
	v_add_f16_e32 v39, v45, v76
	v_add_f16_e32 v73, v45, v64
	;; [unrolled: 1-line block ×5, first 2 shown]
	scratch_store_b32 off, v39, off offset:96 ; 4-byte Folded Spill
	v_add_f16_e32 v39, v45, v65
	v_add_f16_e64 v65, v60, v165
	v_add_f16_e32 v84, v45, v61
	v_fmamk_f16 v54, v59, 0xb5c8, v90
	v_add_f16_e64 v145, v215, v160
	scratch_store_b32 off, v39, off offset:88 ; 4-byte Folded Spill
	v_mul_f16_e32 v76, 0xbbdd, v65
	v_add_f16_e32 v39, v45, v62
	v_mul_f16_e64 v177, 0xbacd, v65
	v_mul_f16_e64 v172, 0xb461, v145
	v_fma_f16 v63, 0xbb29, v59, v178
	v_fmamk_f16 v45, v46, 0x31e1, v76
	v_mul_f16_e64 v183, 0x2de8, v182
	v_sub_f16_e64 v184, v160, v215
	scratch_store_b32 off, v39, off offset:80 ; 4-byte Folded Spill
	v_mul_f16_e64 v186, 0xb8d2, v96
	v_add_f16_e64 v45, v166, v45
	v_mul_f16_e64 v187, 0x3b76, v100
	v_mul_f16_e64 v185, 0xbbb2, v184
	v_sub_f16_e64 v189, v118, v117
	v_mul_f16_e64 v191, 0x39e9, v145
	v_add_f16_e32 v45, v54, v45
	v_fmamk_f16 v54, v51, 0x3836, v94
	v_mul_f16_e64 v192, 0x3b29, v106
	v_mul_f16_e64 v190, 0x3bf7, v189
	;; [unrolled: 1-line block ×4, first 2 shown]
	v_add_f16_e32 v45, v54, v45
	v_fmamk_f16 v54, v58, 0xb964, v98
	v_dual_mov_b32 v61, v214 :: v_dual_mov_b32 v170, v215
	v_fma_f16 v197, 0xbbb2, v59, v196
	v_fma_f16 v213, 0xb836, v59, v212
	s_delay_alu instid0(VALU_DEP_4) | instskip(SKIP_4) | instid1(VALU_DEP_4)
	v_add_f16_e32 v45, v54, v45
	v_fmamk_f16 v54, v57, 0x3a62, v104
	v_dual_mov_b32 v64, v216 :: v_dual_mov_b32 v171, v123
	v_mul_f16_e64 v228, 0xbbdd, v88
	v_mul_f16_e64 v244, 0xb8d2, v88
	v_add_f16_e32 v45, v54, v45
	v_fmamk_f16 v54, v52, 0x3b76, v107
	v_dual_mov_b32 v50, v144 :: v_dual_mov_b32 v123, v112
	v_fma_f16 v229, 0x31e1, v59, v228
	v_fma_f16 v245, 0x3a62, v59, v244
	s_delay_alu instid0(VALU_DEP_4)
	v_add_f16_e32 v54, v54, v66
	v_add_f16_e64 v66, v116, v164
	v_mov_b32_e32 v144, v111
	v_mul_f16_e32 v74, 0x2de8, v88
	v_mov_b32_e32 v112, v114
	v_mov_b32_e32 v114, v78
	v_mul_f16_e32 v108, 0x3722, v66
	v_mul_f16_e64 v188, 0xbbdd, v66
	v_fmamk_f16 v75, v59, 0x3bf7, v74
	v_dual_mov_b32 v126, v101 :: v_dual_mov_b32 v147, v129
	s_delay_alu instid0(VALU_DEP_4) | instskip(SKIP_2) | instid1(VALU_DEP_3)
	v_fmamk_f16 v62, v56, 0xbb29, v108
	v_dual_mov_b32 v101, v82 :: v_dual_mov_b32 v168, v125
	v_dual_mov_b32 v125, v122 :: v_dual_mov_b32 v122, v83
	v_add_f16_e32 v45, v62, v45
	v_fmamk_f16 v62, v49, 0xbacd, v121
	v_mov_b32_e32 v40, v150
	v_mov_b32_e32 v150, v132
	v_fmac_f16_e32 v76, 0xb1e1, v46
	v_fmac_f16_e32 v90, 0x35c8, v59
	v_add_f16_e32 v54, v62, v54
	v_fma_f16 v62, 0x3bb2, v55, v172
	v_fmac_f16_e32 v94, 0xb836, v51
	v_add_f16_e64 v76, v166, v76
	v_fmac_f16_e32 v98, 0x3964, v58
	v_mul_f16_e32 v88, 0x39e9, v88
	v_add_f16_e32 v45, v62, v45
	v_fma_f16 v62, 0x39e9, v48, v174
	v_add_f16_e32 v76, v90, v76
	v_mov_b32_e32 v110, v38
	v_mov_b32_e32 v38, v85
	v_fmamk_f16 v85, v59, 0x3964, v88
	v_add_f16_e32 v54, v62, v54
	v_fma_f16 v62, 0xb8d2, v44, v176
	v_add_f16_e32 v76, v94, v76
	v_fmac_f16_e64 v178, 0x3b29, v59
	v_fmac_f16_e32 v104, 0xba62, v57
	v_fmac_f16_e64 v196, 0x3bb2, v59
	v_add_f16_e32 v54, v62, v54
	v_fma_f16 v62, 0x3836, v46, v177
	v_add_f16_e32 v76, v98, v76
	v_fma_f16 v98, v52, 0x3b76, -v107
	v_fmac_f16_e64 v177, 0xb836, v46
	v_fmac_f16_e32 v108, 0x3b29, v56
	v_add_f16_e64 v62, v166, v62
	v_add_f16_e32 v76, v104, v76
	v_add_f16_e32 v79, v98, v79
	scratch_load_b32 v98, off, off offset:76 th:TH_LOAD_LU ; 4-byte Folded Reload
	v_fmac_f16_e64 v212, 0x3836, v59
	v_add_f16_e32 v62, v63, v62
	v_fma_f16 v63, 0x3722, v47, v180
	v_add_f16_e32 v76, v108, v76
	v_fmac_f16_e32 v74, 0xbbf7, v59
	v_fmac_f16_e64 v228, 0xb1e1, v59
	v_fmac_f16_e64 v244, 0xba62, v59
	v_add_f16_e32 v54, v63, v54
	v_fma_f16 v63, 0x3bf7, v51, v181
	v_fmac_f16_e64 v181, 0xbbf7, v51
	v_fmac_f16_e32 v88, 0xb964, v59
	v_mul_f16_e64 v90, 0xb1e1, v189
	v_fmac_f16_e64 v172, 0xbbb2, v55
	v_add_f16_e32 v62, v63, v62
	v_fma_f16 v63, 0xbbf7, v42, v183
	v_fmac_f16_e64 v183, 0x3bf7, v42
	s_delay_alu instid0(VALU_DEP_4) | instskip(NEXT) | instid1(VALU_DEP_3)
	v_add_f16_e64 v76, v172, v76
	v_add_f16_e32 v39, v63, v45
	v_fma_f16 v63, 0xb461, v43, v185
	v_mov_b32_e32 v45, v151
	v_mov_b32_e32 v151, v133
	v_add_f16_e64 v76, v183, v76
	scratch_store_b32 off, v39, off offset:84 ; 4-byte Folded Spill
	v_add_f16_e32 v54, v63, v54
	v_fma_f16 v63, 0xba62, v58, v186
	v_fmac_f16_e64 v186, 0x3a62, v58
	s_delay_alu instid0(VALU_DEP_2) | instskip(SKIP_2) | instid1(VALU_DEP_2)
	v_add_f16_e32 v62, v63, v62
	v_fma_f16 v63, 0x35c8, v57, v187
	v_fmac_f16_e64 v187, 0xb5c8, v57
	v_add_f16_e32 v62, v63, v62
	v_fma_f16 v63, 0x31e1, v56, v188
	v_fmac_f16_e64 v188, 0xb1e1, v56
	s_delay_alu instid0(VALU_DEP_2) | instskip(SKIP_1) | instid1(VALU_DEP_1)
	v_add_f16_e32 v62, v63, v62
	v_fma_f16 v63, 0x2de8, v41, v190
	v_add_f16_e32 v39, v63, v54
	v_fma_f16 v63, 0xb964, v55, v191
	v_mov_b32_e32 v54, v153
	v_fmac_f16_e64 v191, 0x3964, v55
	v_mov_b32_e32 v153, v135
	scratch_store_b32 off, v39, off offset:92 ; 4-byte Folded Spill
	v_add_f16_e32 v62, v63, v62
	v_fma_f16 v63, 0x3722, v52, v192
	s_delay_alu instid0(VALU_DEP_1) | instskip(SKIP_1) | instid1(VALU_DEP_1)
	v_add_f16_e32 v63, v63, v67
	v_mul_f16_e32 v67, 0xbbf7, v109
	v_fma_f16 v193, 0x2de8, v49, v67
	v_fma_f16 v67, v49, 0x2de8, -v67
	s_delay_alu instid0(VALU_DEP_2) | instskip(SKIP_1) | instid1(VALU_DEP_1)
	v_add_f16_e64 v63, v193, v63
	v_mul_f16_e64 v193, 0x3a62, v173
	v_fma_f16 v194, 0xb8d2, v48, v193
	s_delay_alu instid0(VALU_DEP_1) | instskip(SKIP_1) | instid1(VALU_DEP_1)
	v_add_f16_e64 v63, v194, v63
	v_mul_f16_e64 v194, 0xb8d2, v65
	v_fma_f16 v195, 0x3a62, v46, v194
	v_fmac_f16_e64 v194, 0xba62, v46
	s_delay_alu instid0(VALU_DEP_2) | instskip(NEXT) | instid1(VALU_DEP_1)
	v_add_f16_e64 v195, v166, v195
	v_add_f16_e64 v195, v197, v195
	v_mul_f16_e64 v197, 0xb5c8, v175
	s_delay_alu instid0(VALU_DEP_1) | instskip(NEXT) | instid1(VALU_DEP_1)
	v_fma_f16 v198, 0x3b76, v44, v197
	v_add_f16_e64 v63, v198, v63
	v_mul_f16_e64 v198, 0x3b76, v92
	s_delay_alu instid0(VALU_DEP_1) | instskip(SKIP_1) | instid1(VALU_DEP_2)
	v_fma_f16 v199, 0x35c8, v51, v198
	v_fmac_f16_e64 v198, 0xb5c8, v51
	v_add_f16_e64 v195, v199, v195
	v_mul_f16_e64 v199, 0xb1e1, v179
	s_delay_alu instid0(VALU_DEP_1) | instskip(NEXT) | instid1(VALU_DEP_1)
	v_fma_f16 v200, 0xbbdd, v47, v199
	v_add_f16_e64 v63, v200, v63
	v_mul_f16_e64 v200, 0xb461, v182
	s_delay_alu instid0(VALU_DEP_1) | instskip(SKIP_1) | instid1(VALU_DEP_2)
	v_fma_f16 v201, 0x3bb2, v42, v200
	v_fmac_f16_e64 v200, 0xbbb2, v42
	v_add_f16_e64 v39, v201, v62
	v_mul_f16_e64 v201, 0xbacd, v96
	v_mov_b32_e32 v62, v137
	scratch_store_b32 off, v39, off offset:100 ; 4-byte Folded Spill
	v_fma_f16 v202, 0x3836, v58, v201
	v_fmac_f16_e64 v201, 0xb836, v58
	s_delay_alu instid0(VALU_DEP_2) | instskip(SKIP_1) | instid1(VALU_DEP_1)
	v_add_f16_e64 v195, v202, v195
	v_mul_f16_e64 v202, 0x3964, v184
	v_fma_f16 v203, 0x39e9, v43, v202
	s_delay_alu instid0(VALU_DEP_1) | instskip(SKIP_1) | instid1(VALU_DEP_1)
	v_add_f16_e64 v63, v203, v63
	v_mul_f16_e64 v203, 0x2de8, v100
	v_fma_f16 v204, 0xbbf7, v57, v203
	v_fmac_f16_e64 v203, 0x3bf7, v57
	s_delay_alu instid0(VALU_DEP_2) | instskip(SKIP_1) | instid1(VALU_DEP_1)
	v_add_f16_e64 v195, v204, v195
	v_mul_f16_e64 v204, 0x39e9, v66
	v_fma_f16 v205, 0x3964, v56, v204
	v_fmac_f16_e64 v204, 0xb964, v56
	s_delay_alu instid0(VALU_DEP_2) | instskip(SKIP_1) | instid1(VALU_DEP_1)
	v_add_f16_e64 v195, v205, v195
	v_mul_f16_e64 v205, 0xbbb2, v189
	v_fma_f16 v206, 0xb461, v41, v205
	s_delay_alu instid0(VALU_DEP_1)
	v_add_f16_e64 v39, v206, v63
	v_mul_f16_e64 v206, 0xbbdd, v145
	v_mov_b32_e32 v63, v158
	scratch_store_b32 off, v39, off offset:104 ; 4-byte Folded Spill
	v_fma_f16 v207, 0x31e1, v55, v206
	v_fmac_f16_e64 v206, 0xb1e1, v55
	s_delay_alu instid0(VALU_DEP_2) | instskip(SKIP_1) | instid1(VALU_DEP_1)
	v_add_f16_e64 v195, v207, v195
	v_mul_f16_e64 v207, 0x3bb2, v106
	v_fma_f16 v208, 0xb461, v52, v207
	s_delay_alu instid0(VALU_DEP_1) | instskip(SKIP_1) | instid1(VALU_DEP_1)
	v_add_f16_e64 v68, v208, v68
	v_mul_f16_e64 v208, 0xb5c8, v109
	v_fma_f16 v209, 0x3b76, v49, v208
	s_delay_alu instid0(VALU_DEP_1) | instskip(SKIP_1) | instid1(VALU_DEP_1)
	;; [unrolled: 4-line block ×3, first 2 shown]
	v_add_f16_e64 v68, v210, v68
	v_mul_f16_e64 v210, 0xb461, v65
	v_fma_f16 v211, 0x3bb2, v46, v210
	v_fmac_f16_e64 v210, 0xbbb2, v46
	s_delay_alu instid0(VALU_DEP_2) | instskip(NEXT) | instid1(VALU_DEP_1)
	v_add_f16_e64 v211, v166, v211
	v_add_f16_e64 v211, v213, v211
	v_mul_f16_e64 v213, 0x3bf7, v175
	s_delay_alu instid0(VALU_DEP_1) | instskip(SKIP_1) | instid1(VALU_DEP_2)
	v_fma_f16 v214, 0x2de8, v44, v213
	v_fma_f16 v104, v44, 0x2de8, -v213
	v_add_f16_e64 v68, v214, v68
	v_mul_f16_e64 v214, 0x39e9, v92
	s_delay_alu instid0(VALU_DEP_1) | instskip(SKIP_1) | instid1(VALU_DEP_2)
	v_fma_f16 v215, 0xb964, v51, v214
	v_fmac_f16_e64 v214, 0x3964, v51
	v_add_f16_e64 v211, v215, v211
	v_mul_f16_e64 v215, 0xb964, v179
	s_delay_alu instid0(VALU_DEP_1) | instskip(NEXT) | instid1(VALU_DEP_1)
	v_fma_f16 v216, 0x39e9, v47, v215
	v_add_f16_e64 v68, v216, v68
	v_mul_f16_e64 v216, 0x3722, v182
	s_delay_alu instid0(VALU_DEP_1) | instskip(SKIP_1) | instid1(VALU_DEP_2)
	v_fma_f16 v217, 0xbb29, v42, v216
	v_fmac_f16_e64 v216, 0x3b29, v42
	v_add_f16_e64 v39, v217, v195
	v_mul_f16_e64 v217, 0x3722, v96
	v_mov_b32_e32 v195, v128
	scratch_store_b32 off, v39, off offset:112 ; 4-byte Folded Spill
	v_fma_f16 v218, 0x3b29, v58, v217
	v_fmac_f16_e64 v217, 0xbb29, v58
	s_delay_alu instid0(VALU_DEP_2) | instskip(SKIP_1) | instid1(VALU_DEP_1)
	v_add_f16_e64 v211, v218, v211
	v_mul_f16_e64 v218, 0xb1e1, v184
	v_fma_f16 v219, 0xbbdd, v43, v218
	s_delay_alu instid0(VALU_DEP_1) | instskip(SKIP_1) | instid1(VALU_DEP_1)
	v_add_f16_e64 v68, v219, v68
	v_mul_f16_e64 v219, 0xbbdd, v100
	v_fma_f16 v220, 0x31e1, v57, v219
	v_fmac_f16_e64 v219, 0xb1e1, v57
	s_delay_alu instid0(VALU_DEP_2) | instskip(SKIP_1) | instid1(VALU_DEP_1)
	v_add_f16_e64 v211, v220, v211
	v_mul_f16_e64 v220, 0x2de8, v66
	v_fma_f16 v221, 0xbbf7, v56, v220
	v_fmac_f16_e64 v220, 0x3bf7, v56
	s_delay_alu instid0(VALU_DEP_2) | instskip(SKIP_1) | instid1(VALU_DEP_1)
	v_add_f16_e64 v211, v221, v211
	v_mul_f16_e64 v221, 0x3b29, v189
	v_fma_f16 v222, 0x3722, v41, v221
	s_delay_alu instid0(VALU_DEP_1)
	v_add_f16_e64 v39, v222, v68
	v_mul_f16_e64 v222, 0x3b76, v145
	v_mov_b32_e32 v68, v156
	scratch_store_b32 off, v39, off offset:116 ; 4-byte Folded Spill
	v_fma_f16 v223, 0x35c8, v55, v222
	v_fmac_f16_e64 v222, 0xb5c8, v55
	s_delay_alu instid0(VALU_DEP_2) | instskip(SKIP_1) | instid1(VALU_DEP_1)
	v_add_f16_e64 v211, v223, v211
	v_mul_f16_e64 v223, 0x3836, v106
	v_fma_f16 v224, 0xbacd, v52, v223
	s_delay_alu instid0(VALU_DEP_1) | instskip(SKIP_1) | instid1(VALU_DEP_1)
	v_add_f16_e64 v69, v224, v69
	v_mul_f16_e64 v224, 0x3964, v109
	v_fma_f16 v225, 0x39e9, v49, v224
	s_delay_alu instid0(VALU_DEP_1) | instskip(SKIP_1) | instid1(VALU_DEP_1)
	;; [unrolled: 4-line block ×3, first 2 shown]
	v_add_f16_e64 v69, v226, v69
	v_mul_f16_e64 v226, 0x2de8, v65
	v_fma_f16 v227, 0x3bf7, v46, v226
	v_fmac_f16_e64 v226, 0xbbf7, v46
	s_delay_alu instid0(VALU_DEP_2) | instskip(NEXT) | instid1(VALU_DEP_1)
	v_add_f16_e64 v227, v166, v227
	v_add_f16_e64 v227, v229, v227
	v_mul_f16_e64 v229, 0xb1e1, v175
	s_delay_alu instid0(VALU_DEP_1) | instskip(NEXT) | instid1(VALU_DEP_1)
	v_fma_f16 v230, 0xbbdd, v44, v229
	v_add_f16_e64 v69, v230, v69
	v_mul_f16_e64 v230, 0xb461, v92
	s_delay_alu instid0(VALU_DEP_1) | instskip(SKIP_1) | instid1(VALU_DEP_2)
	v_fma_f16 v231, 0xbbb2, v51, v230
	v_fmac_f16_e64 v230, 0x3bb2, v51
	v_add_f16_e64 v227, v231, v227
	v_mul_f16_e64 v231, 0x3bf7, v179
	s_delay_alu instid0(VALU_DEP_1) | instskip(SKIP_1) | instid1(VALU_DEP_2)
	v_fma_f16 v232, 0x2de8, v47, v231
	v_fma_f16 v107, v47, 0x2de8, -v231
	v_add_f16_e64 v69, v232, v69
	v_mul_f16_e64 v232, 0xb8d2, v182
	s_delay_alu instid0(VALU_DEP_1) | instskip(SKIP_1) | instid1(VALU_DEP_2)
	v_fma_f16 v233, 0x3a62, v42, v232
	v_fmac_f16_e64 v232, 0xba62, v42
	v_add_f16_e64 v39, v233, v211
	v_mul_f16_e64 v233, 0x3b76, v96
	scratch_store_b32 off, v39, off offset:120 ; 4-byte Folded Spill
	v_fma_f16 v234, 0xb5c8, v58, v233
	v_fmac_f16_e64 v233, 0x35c8, v58
	s_delay_alu instid0(VALU_DEP_2) | instskip(SKIP_1) | instid1(VALU_DEP_1)
	v_add_f16_e64 v227, v234, v227
	v_mul_f16_e64 v234, 0xb5c8, v184
	v_fma_f16 v235, 0x3b76, v43, v234
	s_delay_alu instid0(VALU_DEP_1) | instskip(SKIP_1) | instid1(VALU_DEP_1)
	v_add_f16_e64 v69, v235, v69
	v_mul_f16_e64 v235, 0x3722, v100
	v_fma_f16 v236, 0x3b29, v57, v235
	v_fmac_f16_e64 v235, 0xbb29, v57
	s_delay_alu instid0(VALU_DEP_2) | instskip(SKIP_1) | instid1(VALU_DEP_1)
	v_add_f16_e64 v227, v236, v227
	v_mul_f16_e64 v236, 0xbacd, v66
	v_fma_f16 v237, 0x3836, v56, v236
	v_fmac_f16_e64 v236, 0xb836, v56
	s_delay_alu instid0(VALU_DEP_2) | instskip(SKIP_1) | instid1(VALU_DEP_1)
	v_add_f16_e64 v227, v237, v227
	v_mul_f16_e64 v237, 0xba62, v189
	v_fma_f16 v238, 0xb8d2, v41, v237
	s_delay_alu instid0(VALU_DEP_1)
	v_add_f16_e64 v39, v238, v69
	v_mul_f16_e64 v238, 0xb8d2, v145
	v_dual_mov_b32 v69, v154 :: v_dual_mov_b32 v154, v136
	scratch_store_b32 off, v39, off offset:124 ; 4-byte Folded Spill
	v_fma_f16 v239, 0xba62, v55, v238
	v_fmac_f16_e64 v238, 0x3a62, v55
	s_delay_alu instid0(VALU_DEP_2) | instskip(SKIP_1) | instid1(VALU_DEP_1)
	v_add_f16_e64 v227, v239, v227
	v_mul_f16_e64 v239, 0xb1e1, v106
	v_fma_f16 v240, 0xbbdd, v52, v239
	s_delay_alu instid0(VALU_DEP_1) | instskip(SKIP_1) | instid1(VALU_DEP_1)
	v_add_f16_e64 v70, v240, v70
	v_mul_f16_e64 v240, 0x3bb2, v109
	v_fma_f16 v241, 0xb461, v49, v240
	s_delay_alu instid0(VALU_DEP_1) | instskip(SKIP_1) | instid1(VALU_DEP_1)
	;; [unrolled: 4-line block ×3, first 2 shown]
	v_add_f16_e64 v70, v242, v70
	v_mul_f16_e64 v242, 0x3722, v65
	v_fma_f16 v243, 0x3b29, v46, v242
	v_fmac_f16_e64 v242, 0xbb29, v46
	s_delay_alu instid0(VALU_DEP_2) | instskip(NEXT) | instid1(VALU_DEP_1)
	v_add_f16_e64 v243, v166, v243
	v_add_f16_e64 v243, v245, v243
	v_mul_f16_e64 v245, 0xbb29, v175
	s_delay_alu instid0(VALU_DEP_1) | instskip(SKIP_1) | instid1(VALU_DEP_2)
	v_fma_f16 v246, 0x3722, v44, v245
	v_fma_f16 v108, v44, 0x3722, -v245
	v_add_f16_e64 v70, v246, v70
	v_mul_f16_e64 v246, 0xbbdd, v92
	s_delay_alu instid0(VALU_DEP_1) | instskip(SKIP_1) | instid1(VALU_DEP_2)
	v_fma_f16 v247, 0xb1e1, v51, v246
	v_fmac_f16_e64 v246, 0x31e1, v51
	v_add_f16_e64 v243, v247, v243
	v_mul_f16_e64 v247, 0xb836, v179
	s_delay_alu instid0(VALU_DEP_1) | instskip(NEXT) | instid1(VALU_DEP_1)
	v_fma_f16 v248, 0xbacd, v47, v247
	v_add_f16_e64 v70, v248, v70
	v_mul_f16_e64 v248, 0x39e9, v182
	s_delay_alu instid0(VALU_DEP_1) | instskip(SKIP_1) | instid1(VALU_DEP_2)
	v_fma_f16 v249, 0xb964, v42, v248
	v_fmac_f16_e64 v248, 0x3964, v42
	v_add_f16_e64 v227, v249, v227
	v_mul_f16_e64 v249, 0xb461, v96
	s_delay_alu instid0(VALU_DEP_1) | instskip(SKIP_1) | instid1(VALU_DEP_2)
	v_fma_f16 v250, 0xbbb2, v58, v249
	v_fmac_f16_e64 v249, 0x3bb2, v58
	v_add_f16_e64 v243, v250, v243
	v_mul_f16_e64 v250, 0x3a62, v184
	s_delay_alu instid0(VALU_DEP_1) | instskip(NEXT) | instid1(VALU_DEP_1)
	v_fma_f16 v251, 0xb8d2, v43, v250
	v_add_f16_e64 v70, v251, v70
	v_mul_f16_e64 v251, 0x39e9, v100
	s_delay_alu instid0(VALU_DEP_1) | instskip(SKIP_1) | instid1(VALU_DEP_2)
	v_fma_f16 v252, 0xb964, v57, v251
	v_fmac_f16_e64 v251, 0x3964, v57
	v_add_f16_e64 v243, v252, v243
	v_mul_f16_e64 v252, 0x3b76, v66
	s_delay_alu instid0(VALU_DEP_1) | instskip(SKIP_1) | instid1(VALU_DEP_2)
	v_fma_f16 v253, 0x35c8, v56, v252
	v_fmac_f16_e64 v252, 0xb5c8, v56
	v_add_f16_e64 v243, v253, v243
	v_mul_f16_e64 v253, 0x3964, v189
	s_delay_alu instid0(VALU_DEP_1) | instskip(NEXT) | instid1(VALU_DEP_1)
	v_fma_f16 v254, 0x39e9, v41, v253
	v_add_f16_e64 v39, v254, v70
	v_mul_f16_e64 v254, 0x2de8, v145
	v_dual_mov_b32 v70, v159 :: v_dual_mov_b32 v159, v141
	scratch_store_b32 off, v39, off offset:128 ; 4-byte Folded Spill
	v_fma_f16 v255, 0x3bf7, v55, v254
	v_dual_mov_b32 v39, v124 :: v_dual_mov_b32 v124, v115
	v_dual_mov_b32 v115, v80 :: v_dual_mov_b32 v156, v138
	s_delay_alu instid0(VALU_DEP_3) | instskip(SKIP_3) | instid1(VALU_DEP_3)
	v_add_f16_e64 v243, v255, v243
	v_mul_f16_e64 v255, 0xba62, v106
	v_mov_b32_e32 v158, v140
	v_fmac_f16_e64 v254, 0xbbf7, v55
	v_fma_f16 v111, 0xb8d2, v52, v255
	s_delay_alu instid0(VALU_DEP_1) | instskip(SKIP_1) | instid1(VALU_DEP_1)
	v_add_f16_e32 v71, v111, v71
	v_mul_f16_e32 v111, 0x31e1, v109
	v_fmamk_f16 v53, v49, 0xbbdd, v111
	s_delay_alu instid0(VALU_DEP_1) | instskip(SKIP_1) | instid1(VALU_DEP_1)
	v_add_f16_e32 v53, v53, v71
	v_mul_f16_e64 v71, 0x3bb2, v173
	v_fma_f16 v162, 0xb461, v48, v71
	v_fma_f16 v71, v48, 0xb461, -v71
	s_delay_alu instid0(VALU_DEP_2) | instskip(SKIP_2) | instid1(VALU_DEP_2)
	v_add_f16_e64 v53, v162, v53
	v_mul_f16_e64 v162, 0x39e9, v65
	v_mul_f16_e32 v65, 0x3b76, v65
	v_fma_f16 v163, 0x3964, v46, v162
	v_fmac_f16_e64 v162, 0xb964, v46
	s_delay_alu instid0(VALU_DEP_2) | instskip(NEXT) | instid1(VALU_DEP_1)
	v_add_f16_e64 v163, v166, v163
	v_add_f16_e64 v75, v75, v163
	v_mul_f16_e64 v163, 0x3964, v175
	s_delay_alu instid0(VALU_DEP_1) | instskip(NEXT) | instid1(VALU_DEP_1)
	v_fma_f16 v78, 0x39e9, v44, v163
	v_add_f16_e32 v53, v78, v53
	v_mul_f16_e32 v78, 0xb8d2, v92
	v_mul_f16_e32 v92, 0x3722, v92
	s_delay_alu instid0(VALU_DEP_2) | instskip(SKIP_1) | instid1(VALU_DEP_2)
	v_fmamk_f16 v80, v51, 0x3a62, v78
	v_fmac_f16_e32 v78, 0xba62, v51
	v_add_f16_e32 v75, v80, v75
	v_mul_f16_e64 v80, 0xb5c8, v179
	s_delay_alu instid0(VALU_DEP_1) | instskip(NEXT) | instid1(VALU_DEP_1)
	v_fmamk_f16 v82, v47, 0x3b76, v80
	v_add_f16_e32 v53, v82, v53
	v_mul_f16_e64 v82, 0xbacd, v182
	s_delay_alu instid0(VALU_DEP_1) | instskip(SKIP_1) | instid1(VALU_DEP_2)
	v_fma_f16 v128, 0x3836, v42, v82
	v_fmac_f16_e32 v82, 0xb836, v42
	v_add_f16_e64 v211, v128, v243
	v_mul_f16_e64 v243, 0xbbdd, v96
	v_mul_f16_e32 v96, 0x2de8, v96
	v_dual_mov_b32 v128, v157 :: v_dual_mov_b32 v157, v139
	s_delay_alu instid0(VALU_DEP_3) | instskip(SKIP_1) | instid1(VALU_DEP_2)
	v_fma_f16 v129, 0x31e1, v58, v243
	v_fmac_f16_e64 v243, 0xb1e1, v58
	v_add_f16_e64 v75, v129, v75
	v_mul_f16_e64 v129, 0xbbf7, v184
	s_delay_alu instid0(VALU_DEP_1) | instskip(NEXT) | instid1(VALU_DEP_1)
	v_fma_f16 v83, 0x2de8, v43, v129
	v_add_f16_e32 v53, v83, v53
	v_mul_f16_e32 v83, 0xbacd, v100
	v_mul_f16_e32 v100, 0xb461, v100
	s_delay_alu instid0(VALU_DEP_2) | instskip(SKIP_1) | instid1(VALU_DEP_2)
	v_fma_f16 v130, 0xb836, v57, v83
	v_fmac_f16_e32 v83, 0x3836, v57
	v_add_f16_e64 v75, v130, v75
	v_mul_f16_e64 v130, 0xb461, v66
	v_mul_f16_e32 v66, 0xb8d2, v66
	s_delay_alu instid0(VALU_DEP_2) | instskip(SKIP_1) | instid1(VALU_DEP_2)
	v_fma_f16 v131, 0xbbb2, v56, v130
	v_fmac_f16_e64 v130, 0x3bb2, v56
	v_add_f16_e64 v75, v131, v75
	v_mul_f16_e64 v131, 0xb836, v189
	s_delay_alu instid0(VALU_DEP_1) | instskip(NEXT) | instid1(VALU_DEP_1)
	v_fma_f16 v132, 0xbacd, v41, v131
	v_add_f16_e64 v161, v132, v53
	v_mul_f16_e64 v132, 0x3722, v145
	v_dual_mov_b32 v53, v152 :: v_dual_mov_b32 v152, v134
	v_mul_f16_e64 v145, 0xbacd, v145
	s_delay_alu instid0(VALU_DEP_3) | instskip(SKIP_1) | instid1(VALU_DEP_2)
	v_fma_f16 v133, 0xbb29, v55, v132
	v_fmac_f16_e64 v132, 0x3b29, v55
	v_add_f16_e64 v75, v133, v75
	v_mul_f16_e64 v133, 0xbbf7, v106
	v_mul_f16_e32 v106, 0xb964, v106
	s_delay_alu instid0(VALU_DEP_2) | instskip(SKIP_3) | instid1(VALU_DEP_4)
	v_fma_f16 v134, 0x2de8, v52, v133
	v_fma_f16 v59, v52, 0x2de8, -v133
	v_mov_b32_e32 v133, v151
	v_mov_b32_e32 v151, v45
	v_add_f16_e64 v73, v134, v73
	v_mul_f16_e64 v134, 0xba62, v109
	v_mul_f16_e32 v109, 0xbb29, v109
	s_delay_alu instid0(VALU_DEP_2) | instskip(NEXT) | instid1(VALU_DEP_1)
	v_fma_f16 v135, 0xb8d2, v49, v134
	v_add_f16_e64 v73, v135, v73
	v_mul_f16_e64 v135, 0xb1e1, v173
	s_delay_alu instid0(VALU_DEP_1) | instskip(NEXT) | instid1(VALU_DEP_1)
	v_fma_f16 v136, 0xbbdd, v48, v135
	v_add_f16_e64 v73, v136, v73
	v_fma_f16 v136, 0x35c8, v46, v65
	v_fmac_f16_e32 v65, 0xb5c8, v46
	s_delay_alu instid0(VALU_DEP_2) | instskip(NEXT) | instid1(VALU_DEP_2)
	v_add_f16_e64 v136, v166, v136
	v_add_f16_e64 v65, v166, v65
	s_delay_alu instid0(VALU_DEP_2) | instskip(SKIP_1) | instid1(VALU_DEP_1)
	v_add_f16_e64 v85, v85, v136
	v_mul_f16_e64 v136, 0x3836, v175
	v_fma_f16 v137, 0xbacd, v44, v136
	s_delay_alu instid0(VALU_DEP_1) | instskip(SKIP_3) | instid1(VALU_DEP_3)
	v_add_f16_e64 v73, v137, v73
	v_fma_f16 v137, 0x3b29, v51, v92
	v_fmac_f16_e32 v92, 0xbb29, v51
	v_fma_f16 v51, v52, 0x39e9, -v106
	v_add_f16_e64 v85, v137, v85
	v_mul_f16_e64 v137, 0x3bb2, v179
	s_delay_alu instid0(VALU_DEP_1) | instskip(NEXT) | instid1(VALU_DEP_1)
	v_fma_f16 v138, 0xb461, v47, v137
	v_add_f16_e64 v73, v138, v73
	v_fma_f16 v138, 0x3bf7, v58, v96
	v_fmac_f16_e32 v96, 0xbbf7, v58
	s_delay_alu instid0(VALU_DEP_2) | instskip(SKIP_1) | instid1(VALU_DEP_1)
	v_add_f16_e64 v85, v138, v85
	v_mul_f16_e64 v138, 0x3b29, v184
	v_fma_f16 v139, 0x3722, v43, v138
	s_delay_alu instid0(VALU_DEP_1) | instskip(SKIP_2) | instid1(VALU_DEP_2)
	v_add_f16_e64 v73, v139, v73
	v_fma_f16 v139, 0x3bb2, v57, v100
	v_fmac_f16_e32 v100, 0xbbb2, v57
	v_add_f16_e64 v85, v139, v85
	v_mul_f16_e64 v139, 0x3b76, v182
	s_delay_alu instid0(VALU_DEP_1) | instskip(SKIP_1) | instid1(VALU_DEP_2)
	v_fma_f16 v140, 0xb5c8, v42, v139
	v_fmac_f16_e64 v139, 0x35c8, v42
	v_add_f16_e64 v75, v140, v75
	v_mul_f16_e64 v140, 0x35c8, v189
	s_delay_alu instid0(VALU_DEP_1) | instskip(NEXT) | instid1(VALU_DEP_1)
	v_fma_f16 v141, 0x3b76, v41, v140
	v_add_f16_e64 v73, v141, v73
	v_add_f16_e64 v141, v165, v166
	v_fma_f16 v165, 0x3a62, v56, v66
	v_fmac_f16_e32 v66, 0xba62, v56
	s_delay_alu instid0(VALU_DEP_3) | instskip(NEXT) | instid1(VALU_DEP_3)
	v_add_f16_e64 v141, v167, v141
	v_add_f16_e64 v85, v165, v85
	v_fma_f16 v165, 0x39e9, v52, v106
	s_delay_alu instid0(VALU_DEP_3) | instskip(NEXT) | instid1(VALU_DEP_2)
	v_add_f16_e64 v141, v146, v141
	v_add_f16_e64 v77, v165, v77
	v_fma_f16 v165, 0x3836, v55, v145
	v_fmac_f16_e64 v145, 0xb836, v55
	s_delay_alu instid0(VALU_DEP_4) | instskip(NEXT) | instid1(VALU_DEP_3)
	v_add_f16_e64 v141, v120, v141
	v_add_f16_e64 v85, v165, v85
	v_fma_f16 v165, 0x3722, v49, v109
	s_delay_alu instid0(VALU_DEP_3) | instskip(NEXT) | instid1(VALU_DEP_2)
	v_add_f16_e64 v141, v119, v141
	v_add_f16_e64 v77, v165, v77
	s_delay_alu instid0(VALU_DEP_2) | instskip(SKIP_1) | instid1(VALU_DEP_2)
	v_add_f16_e64 v141, v164, v141
	v_mul_f16_e64 v164, 0xbbf7, v173
	v_add_f16_e64 v141, v160, v141
	s_delay_alu instid0(VALU_DEP_2) | instskip(NEXT) | instid1(VALU_DEP_2)
	v_fma_f16 v165, 0x2de8, v48, v164
	v_add_f16_e64 v120, v118, v141
	s_delay_alu instid0(VALU_DEP_2) | instskip(SKIP_2) | instid1(VALU_DEP_4)
	v_add_f16_e64 v77, v165, v77
	v_mul_f16_e64 v165, 0xbbb2, v175
	v_mul_f16_e64 v141, 0xbbdd, v182
	v_add_f16_e32 v119, v117, v120
	v_mul_f16_e64 v120, 0xba62, v179
	s_delay_alu instid0(VALU_DEP_4) | instskip(NEXT) | instid1(VALU_DEP_3)
	v_fma_f16 v167, 0xb461, v44, v165
	v_add_f16_e64 v118, v170, v119
	v_mul_f16_e64 v119, 0xb836, v184
	s_delay_alu instid0(VALU_DEP_3)
	v_add_f16_e64 v77, v167, v77
	v_fma_f16 v167, 0x31e1, v42, v141
	v_fmac_f16_e64 v141, 0xb1e1, v42
	v_add_f16_e32 v117, v116, v118
	v_fmamk_f16 v118, v41, 0xbbdd, v90
	v_fma_f16 v42, v41, 0xbacd, -v131
	v_add_f16_e64 v85, v167, v85
	v_fma_f16 v167, 0xb8d2, v47, v120
	v_add_f16_e32 v116, v38, v117
	v_mov_b32_e32 v38, v110
	s_delay_alu instid0(VALU_DEP_3) | instskip(NEXT) | instid1(VALU_DEP_3)
	v_add_f16_e64 v77, v167, v77
	v_add_f16_e32 v94, v101, v116
	v_mov_b32_e32 v101, v126
	v_fma_f16 v167, 0xbacd, v43, v119
	v_lshrrev_b32_e32 v126, 16, v33
	s_delay_alu instid0(VALU_DEP_4)
	v_add_f16_e32 v94, v115, v94
	v_dual_mov_b32 v115, v124 :: v_dual_mov_b32 v124, v39
	scratch_load_b32 v39, off, off offset:108 th:TH_LOAD_LU ; 4-byte Folded Reload
	s_wait_loadcnt 0x1
	v_add_f16_e32 v116, v122, v98
	v_fma_f16 v98, v49, 0xbacd, -v121
	v_add_f16_e32 v94, v114, v94
	v_mov_b32_e32 v114, v112
	v_dual_mov_b32 v112, v123 :: v_dual_mov_b32 v123, v171
	s_delay_alu instid0(VALU_DEP_4)
	v_add_f16_e32 v79, v98, v79
	v_fma_f16 v98, v48, 0x39e9, -v174
	v_add_f16_e32 v60, v60, v94
	v_fma_f16 v94, v44, 0xb8d2, -v176
	v_mov_b32_e32 v122, v125
	v_add_f16_e64 v77, v167, v77
	v_add_f16_e32 v79, v98, v79
	v_fma_f16 v98, v47, 0x3722, -v180
	v_mov_b32_e32 v125, v168
	s_delay_alu instid0(VALU_DEP_4) | instskip(NEXT) | instid1(VALU_DEP_4)
	v_add_f16_e32 v77, v118, v77
	v_add_f16_e32 v79, v94, v79
	v_add_f16_e64 v94, v166, v177
	s_delay_alu instid0(VALU_DEP_2) | instskip(NEXT) | instid1(VALU_DEP_2)
	v_add_f16_e32 v79, v98, v79
	v_add_f16_e64 v94, v178, v94
	v_fma_f16 v98, v43, 0xb461, -v185
	s_delay_alu instid0(VALU_DEP_2) | instskip(NEXT) | instid1(VALU_DEP_2)
	v_add_f16_e64 v94, v181, v94
	v_add_f16_e32 v79, v98, v79
	v_fma_f16 v98, v52, 0x3722, -v192
	s_delay_alu instid0(VALU_DEP_3) | instskip(NEXT) | instid1(VALU_DEP_2)
	v_add_f16_e64 v94, v186, v94
	v_add_f16_e32 v81, v98, v81
	v_fma_f16 v98, v41, 0x2de8, -v190
	s_delay_alu instid0(VALU_DEP_3) | instskip(NEXT) | instid1(VALU_DEP_3)
	v_add_f16_e64 v94, v187, v94
	v_add_f16_e32 v67, v67, v81
	s_delay_alu instid0(VALU_DEP_3) | instskip(SKIP_1) | instid1(VALU_DEP_4)
	v_add_f16_e32 v79, v98, v79
	v_fma_f16 v98, v44, 0x3b76, -v197
	v_add_f16_e64 v81, v188, v94
	v_fma_f16 v94, v48, 0xb8d2, -v193
	s_delay_alu instid0(VALU_DEP_2) | instskip(NEXT) | instid1(VALU_DEP_2)
	v_add_f16_e64 v81, v191, v81
	v_add_f16_e32 v67, v94, v67
	v_add_f16_e64 v94, v166, v194
	s_delay_alu instid0(VALU_DEP_3) | instskip(NEXT) | instid1(VALU_DEP_3)
	v_add_f16_e64 v81, v200, v81
	v_add_f16_e32 v67, v98, v67
	v_fma_f16 v98, v47, 0xbbdd, -v199
	s_delay_alu instid0(VALU_DEP_4) | instskip(NEXT) | instid1(VALU_DEP_2)
	v_add_f16_e64 v94, v196, v94
	v_add_f16_e32 v67, v98, v67
	v_fma_f16 v98, v43, 0x39e9, -v202
	s_delay_alu instid0(VALU_DEP_3) | instskip(NEXT) | instid1(VALU_DEP_2)
	v_add_f16_e64 v94, v198, v94
	v_add_f16_e32 v67, v98, v67
	v_fma_f16 v98, v52, 0xb461, -v207
	s_delay_alu instid0(VALU_DEP_3) | instskip(NEXT) | instid1(VALU_DEP_2)
	;; [unrolled: 4-line block ×5, first 2 shown]
	v_add_f16_e64 v94, v206, v94
	v_add_f16_e32 v84, v98, v84
	s_delay_alu instid0(VALU_DEP_2) | instskip(SKIP_2) | instid1(VALU_DEP_4)
	v_add_f16_e64 v94, v216, v94
	v_mov_b32_e32 v216, v64
	v_add_f16_e64 v98, v166, v210
	v_add_f16_e32 v84, v104, v84
	v_fma_f16 v104, v47, 0x39e9, -v215
	s_delay_alu instid0(VALU_DEP_3) | instskip(NEXT) | instid1(VALU_DEP_2)
	v_add_f16_e64 v98, v212, v98
	v_add_f16_e32 v84, v104, v84
	v_fma_f16 v104, v52, 0xbacd, -v223
	s_delay_alu instid0(VALU_DEP_3) | instskip(SKIP_1) | instid1(VALU_DEP_3)
	v_add_f16_e64 v98, v214, v98
	v_mov_b32_e32 v214, v61
	v_add_f16_e32 v86, v104, v86
	v_fma_f16 v104, v43, 0xbbdd, -v218
	s_delay_alu instid0(VALU_DEP_4) | instskip(NEXT) | instid1(VALU_DEP_2)
	v_add_f16_e64 v98, v217, v98
	v_add_f16_e32 v84, v104, v84
	v_fma_f16 v104, v49, 0x39e9, -v224
	s_delay_alu instid0(VALU_DEP_3) | instskip(NEXT) | instid1(VALU_DEP_2)
	v_add_f16_e64 v98, v219, v98
	v_add_f16_e32 v86, v104, v86
	v_fma_f16 v104, v48, 0x3722, -v225
	s_delay_alu instid0(VALU_DEP_3) | instskip(NEXT) | instid1(VALU_DEP_2)
	;; [unrolled: 4-line block ×4, first 2 shown]
	v_add_f16_e64 v98, v232, v98
	v_add_f16_e32 v86, v104, v86
	v_add_f16_e64 v104, v166, v226
	s_delay_alu instid0(VALU_DEP_2) | instskip(SKIP_1) | instid1(VALU_DEP_3)
	v_add_f16_e32 v86, v107, v86
	v_fma_f16 v107, v43, 0x3b76, -v234
	v_add_f16_e64 v104, v228, v104
	s_delay_alu instid0(VALU_DEP_2) | instskip(SKIP_1) | instid1(VALU_DEP_3)
	v_add_f16_e32 v86, v107, v86
	v_fma_f16 v107, v52, 0xbbdd, -v239
	v_add_f16_e64 v104, v230, v104
	s_delay_alu instid0(VALU_DEP_1) | instskip(NEXT) | instid1(VALU_DEP_1)
	v_add_f16_e64 v104, v233, v104
	v_add_f16_e64 v104, v235, v104
	s_delay_alu instid0(VALU_DEP_1) | instskip(NEXT) | instid1(VALU_DEP_1)
	v_add_f16_e64 v104, v236, v104
	v_add_f16_e64 v104, v238, v104
	s_delay_alu instid0(VALU_DEP_1) | instskip(SKIP_4) | instid1(VALU_DEP_1)
	v_add_f16_e64 v104, v248, v104
	s_wait_loadcnt 0x0
	v_add_f16_e32 v64, v107, v39
	scratch_load_b32 v39, off, off offset:96 th:TH_LOAD_LU ; 4-byte Folded Reload
	v_fma_f16 v107, v49, 0xb461, -v240
	v_add_f16_e32 v64, v107, v64
	v_fma_f16 v107, v48, 0x3b76, -v241
	s_delay_alu instid0(VALU_DEP_1) | instskip(SKIP_1) | instid1(VALU_DEP_2)
	v_add_f16_e32 v64, v107, v64
	v_add_f16_e64 v107, v166, v242
	v_add_f16_e32 v64, v108, v64
	v_fma_f16 v108, v41, 0xb8d2, -v237
	s_delay_alu instid0(VALU_DEP_3) | instskip(NEXT) | instid1(VALU_DEP_2)
	v_add_f16_e64 v107, v244, v107
	v_add_f16_e32 v86, v108, v86
	v_fma_f16 v108, v47, 0xbacd, -v247
	s_delay_alu instid0(VALU_DEP_3) | instskip(NEXT) | instid1(VALU_DEP_2)
	v_add_f16_e64 v107, v246, v107
	v_add_f16_e32 v64, v108, v64
	v_fma_f16 v108, v52, 0xb8d2, -v255
	v_fma_f16 v52, v49, 0xb8d2, -v134
	v_mov_b32_e32 v134, v152
	v_mov_b32_e32 v152, v53
	v_add_f16_e64 v107, v249, v107
	s_delay_alu instid0(VALU_DEP_1) | instskip(NEXT) | instid1(VALU_DEP_1)
	v_add_f16_e64 v107, v251, v107
	v_add_f16_e64 v107, v252, v107
	s_wait_loadcnt 0x0
	v_add_f16_e32 v61, v108, v39
	scratch_load_b32 v39, off, off offset:88 th:TH_LOAD_LU ; 4-byte Folded Reload
	v_add_f16_e64 v108, v166, v162
	s_delay_alu instid0(VALU_DEP_1) | instskip(SKIP_1) | instid1(VALU_DEP_2)
	v_add_f16_e32 v74, v74, v108
	v_fma_f16 v108, v43, 0xb8d2, -v250
	v_add_f16_e32 v74, v78, v74
	s_delay_alu instid0(VALU_DEP_2) | instskip(SKIP_4) | instid1(VALU_DEP_4)
	v_add_f16_e32 v64, v108, v64
	v_fma_f16 v108, v49, 0xbbdd, -v111
	v_dual_mov_b32 v111, v144 :: v_dual_mov_b32 v144, v50
	v_fma_f16 v78, v44, 0x39e9, -v163
	v_fma_f16 v49, v49, 0x3722, -v109
	v_add_f16_e32 v61, v108, v61
	s_delay_alu instid0(VALU_DEP_1) | instskip(SKIP_2) | instid1(VALU_DEP_3)
	v_add_f16_e32 v61, v71, v61
	v_add_f16_e64 v71, v243, v74
	v_add_f16_e64 v74, v254, v107
	v_add_f16_e32 v61, v78, v61
	s_delay_alu instid0(VALU_DEP_3) | instskip(SKIP_1) | instid1(VALU_DEP_4)
	v_add_f16_e32 v71, v83, v71
	v_fma_f16 v78, v41, 0x39e9, -v253
	v_add_f16_e32 v74, v82, v74
	s_delay_alu instid0(VALU_DEP_3) | instskip(NEXT) | instid1(VALU_DEP_3)
	v_add_f16_e64 v71, v130, v71
	v_add_f16_e32 v64, v78, v64
	v_fma_f16 v78, v47, 0x3b76, -v80
	s_delay_alu instid0(VALU_DEP_3) | instskip(NEXT) | instid1(VALU_DEP_2)
	v_add_f16_e64 v46, v132, v71
	v_add_f16_e32 v61, v78, v61
	v_fma_f16 v78, v43, 0x2de8, -v129
	v_dual_mov_b32 v129, v147 :: v_dual_mov_b32 v132, v150
	v_mov_b32_e32 v150, v40
	v_add_f16_e64 v46, v139, v46
	s_delay_alu instid0(VALU_DEP_4)
	v_add_f16_e32 v61, v78, v61
	v_mov_b32_e32 v139, v157
	v_mov_b32_e32 v157, v128
	v_lshrrev_b32_e32 v147, 16, v32
	v_mov_b32_e32 v128, v195
	v_add_f16_e32 v42, v42, v61
	s_delay_alu instid0(VALU_DEP_1)
	v_pack_b32_f16 v42, v42, v74
	s_wait_loadcnt 0x0
	v_add_f16_e32 v50, v59, v39
	scratch_load_b32 v39, off, off offset:80 th:TH_LOAD_LU ; 4-byte Folded Reload
	v_add_f16_e32 v59, v88, v65
	v_add_f16_e32 v50, v52, v50
	s_delay_alu instid0(VALU_DEP_2)
	v_add_f16_e32 v52, v92, v59
	s_wait_loadcnt 0x0
	v_add_f16_e32 v40, v51, v39
	v_fma_f16 v51, v48, 0xbbdd, -v135
	v_fma_f16 v48, v48, 0x2de8, -v164
	v_mov_b32_e32 v135, v153
	v_mov_b32_e32 v153, v54
	v_add_f16_e32 v40, v49, v40
	v_fma_f16 v49, v44, 0xbacd, -v136
	v_fma_f16 v44, v44, 0xb461, -v165
	v_add_f16_e32 v50, v51, v50
	v_add_f16_e32 v51, v96, v52
	;; [unrolled: 1-line block ×3, first 2 shown]
	v_fma_f16 v48, v47, 0xb461, -v137
	v_mov_b32_e32 v136, v154
	v_add_f16_e32 v49, v49, v50
	v_add_f16_e32 v50, v100, v51
	v_add_f16_e32 v40, v44, v40
	v_fma_f16 v44, v47, 0xb8d2, -v120
	v_fma_f16 v47, v43, 0x3722, -v138
	;; [unrolled: 1-line block ×3, first 2 shown]
	v_add_f16_e32 v48, v48, v49
	v_add_f16_e32 v49, v66, v50
	;; [unrolled: 1-line block ×3, first 2 shown]
	v_fma_f16 v44, v41, 0x3b76, -v140
	v_fma_f16 v41, v41, 0xbbdd, -v90
	v_add_f16_e32 v47, v47, v48
	v_add_f16_e64 v48, v145, v49
	v_add_f16_e32 v40, v43, v40
	s_clause 0x3
	scratch_load_b32 v39, off, off offset:72 th:TH_LOAD_LU
	scratch_load_b32 v43, off, off offset:132 th:TH_LOAD_LU
	;; [unrolled: 1-line block ×4, first 2 shown]
	v_add_f16_e32 v44, v44, v47
	v_add_f16_e64 v47, v141, v48
	v_pack_b32_f16 v48, v77, v85
	v_pack_b32_f16 v49, v161, v211
	;; [unrolled: 1-line block ×3, first 2 shown]
	v_add_f16_e32 v40, v41, v40
	v_dual_mov_b32 v154, v69 :: v_dual_mov_b32 v137, v62
	v_mov_b32_e32 v138, v156
	v_mov_b32_e32 v156, v68
	;; [unrolled: 1-line block ×3, first 2 shown]
	v_dual_mov_b32 v158, v63 :: v_dual_mov_b32 v141, v159
	v_mov_b32_e32 v159, v70
	v_pack_b32_f16 v44, v44, v46
	v_pack_b32_f16 v40, v40, v47
	s_wait_loadcnt 0x2
	v_lshl_add_u32 v43, v39, 2, v43
	s_wait_loadcnt 0x0
	v_pack_b32_f16 v51, v51, v45
	scratch_load_b32 v45, off, off offset:128 th:TH_LOAD_LU ; 4-byte Folded Reload
	v_pack_b32_f16 v39, v116, v60
	s_wait_loadcnt 0x0
	v_pack_b32_f16 v52, v45, v227
	s_clause 0x1
	scratch_load_b32 v45, off, off offset:100 th:TH_LOAD_LU
	scratch_load_b32 v53, off, off offset:104 th:TH_LOAD_LU
	s_wait_loadcnt 0x0
	v_pack_b32_f16 v53, v53, v45
	s_clause 0x1
	scratch_load_b32 v45, off, off offset:112 th:TH_LOAD_LU
	scratch_load_b32 v54, off, off offset:116 th:TH_LOAD_LU
	s_wait_loadcnt 0x0
	v_pack_b32_f16 v55, v54, v45
	ds_store_2addr_b32 v43, v39, v48 offset1:1
	ds_store_2addr_b32 v43, v50, v49 offset0:2 offset1:3
	ds_store_2addr_b32 v43, v52, v51 offset0:4 offset1:5
	;; [unrolled: 1-line block ×3, first 2 shown]
	s_clause 0x1
	scratch_load_b32 v41, off, off offset:84 th:TH_LOAD_LU
	scratch_load_b32 v45, off, off offset:92 th:TH_LOAD_LU
	v_pack_b32_f16 v39, v79, v76
	v_pack_b32_f16 v48, v67, v81
	;; [unrolled: 1-line block ×4, first 2 shown]
	s_wait_loadcnt 0x0
	v_pack_b32_f16 v41, v45, v41
	v_pack_b32_f16 v45, v84, v94
	ds_store_2addr_b32 v43, v41, v39 offset0:8 offset1:9
	ds_store_2addr_b32 v43, v48, v45 offset0:10 offset1:11
	ds_store_2addr_b32 v43, v50, v49 offset0:12 offset1:13
	ds_store_2addr_b32 v43, v42, v44 offset0:14 offset1:15
	ds_store_b32 v43, v40 offset:64
.LBB0_13:
	s_wait_alu 0xfffe
	s_or_b32 exec_lo, exec_lo, s0
	global_wb scope:SCOPE_SE
	s_wait_storecnt_dscnt 0x0
	s_barrier_signal -1
	s_barrier_wait -1
	global_inv scope:SCOPE_SE
	ds_load_2addr_b32 v[41:42], v72 offset1:17
	ds_load_2addr_b32 v[39:40], v72 offset0:68 offset1:85
	ds_load_2addr_b32 v[51:52], v72 offset0:170 offset1:187
	v_add_nc_u32_e32 v45, 0x400, v72
	ds_load_2addr_b32 v[54:55], v72 offset0:238 offset1:255
	ds_load_2addr_b32 v[56:57], v72 offset0:102 offset1:119
	;; [unrolled: 1-line block ×9, first 2 shown]
	ds_load_b32 v53, v72 offset:1632
	global_wb scope:SCOPE_SE
	s_wait_dscnt 0x0
	s_barrier_signal -1
	s_barrier_wait -1
	global_inv scope:SCOPE_SE
	s_mov_b32 s8, 0xace01346
	s_mov_b32 s9, 0x3f634679
	v_lshrrev_b32_e32 v73, 16, v55
	v_lshrrev_b32_e32 v74, 16, v56
	;; [unrolled: 1-line block ×3, first 2 shown]
	v_mul_f16_e32 v106, v115, v55
	v_lshrrev_b32_e32 v70, 16, v40
	v_lshrrev_b32_e32 v71, 16, v51
	;; [unrolled: 1-line block ×3, first 2 shown]
	v_mul_f16_e32 v100, v122, v51
	v_mul_f16_e32 v104, v115, v73
	;; [unrolled: 1-line block ×4, first 2 shown]
	v_lshrrev_b32_e32 v77, 16, v60
	v_lshrrev_b32_e32 v78, 16, v59
	v_fmac_f16_e32 v104, v2, v55
	v_fmac_f16_e32 v88, v0, v40
	v_mul_f16_e32 v40, v123, v40
	v_fmac_f16_e32 v98, v1, v51
	v_fma_f16 v51, v1, v71, -v100
	v_fma_f16 v55, v2, v73, -v106
	v_mul_f16_e32 v71, v112, v58
	v_fma_f16 v40, v0, v70, -v40
	v_mul_f16_e32 v70, v112, v76
	v_mul_f16_e32 v73, v123, v74
	;; [unrolled: 1-line block ×4, first 2 shown]
	v_lshrrev_b32_e32 v79, 16, v57
	v_lshrrev_b32_e32 v80, 16, v62
	;; [unrolled: 1-line block ×3, first 2 shown]
	v_fmac_f16_e32 v70, v3, v58
	v_fma_f16 v58, v3, v76, -v71
	v_fmac_f16_e32 v73, v0, v56
	v_fma_f16 v56, v0, v74, -v100
	v_fmac_f16_e32 v106, v1, v52
	v_mul_f16_e32 v0, v122, v52
	v_mul_f16_e32 v52, v115, v77
	;; [unrolled: 1-line block ×5, first 2 shown]
	v_lshrrev_b32_e32 v82, 16, v64
	v_lshrrev_b32_e32 v83, 16, v66
	v_fma_f16 v75, v1, v75, -v0
	v_fmac_f16_e32 v52, v2, v60
	v_fma_f16 v60, v2, v77, -v71
	v_fmac_f16_e32 v74, v3, v59
	v_fma_f16 v59, v3, v78, -v76
	v_mul_f16_e64 v71, v216, v79
	v_mul_f16_e64 v0, v216, v57
	;; [unrolled: 1-line block ×5, first 2 shown]
	v_lshrrev_b32_e32 v84, 16, v63
	v_lshrrev_b32_e32 v85, 16, v68
	v_fmac_f16_e32 v71, v12, v57
	v_fma_f16 v12, v12, v79, -v0
	v_fmac_f16_e32 v76, v13, v62
	v_fma_f16 v13, v13, v80, -v1
	v_fmac_f16_e32 v77, v14, v61
	v_mul_f16_e64 v0, v159, v61
	v_mul_f16_e64 v57, v158, v82
	;; [unrolled: 1-line block ×4, first 2 shown]
	v_lshrrev_b32_e32 v86, 16, v65
	v_lshrrev_b32_e32 v90, 16, v67
	v_mul_f16_e64 v2, v157, v66
	v_fma_f16 v14, v14, v81, -v0
	v_fmac_f16_e32 v57, v15, v64
	v_fma_f16 v15, v15, v82, -v1
	v_fmac_f16_e32 v61, v8, v66
	v_mul_f16_e64 v64, v156, v84
	v_mul_f16_e64 v0, v156, v63
	;; [unrolled: 1-line block ×4, first 2 shown]
	v_lshrrev_b32_e32 v92, 16, v54
	v_mul_f16_e64 v78, v154, v86
	v_fmac_f16_e32 v64, v9, v63
	v_fma_f16 v63, v9, v84, -v0
	v_fmac_f16_e32 v66, v10, v68
	v_fma_f16 v68, v10, v85, -v1
	v_mul_f16_e64 v0, v154, v65
	v_mul_f16_e64 v9, v153, v90
	;; [unrolled: 1-line block ×3, first 2 shown]
	v_lshrrev_b32_e32 v94, 16, v69
	v_lshrrev_b32_e32 v96, 16, v53
	v_fma_f16 v62, v8, v83, -v2
	v_fmac_f16_e32 v78, v11, v65
	v_mul_f16_e64 v8, v152, v92
	v_fma_f16 v65, v11, v86, -v0
	v_fmac_f16_e32 v9, v4, v67
	v_fma_f16 v1, v4, v90, -v1
	v_add_f16_e32 v0, v98, v104
	v_add_f16_e32 v4, v41, v88
	v_mul_f16_e64 v2, v152, v54
	v_fmac_f16_e32 v8, v5, v54
	v_mul_f16_e64 v10, v151, v94
	v_mul_f16_e64 v3, v151, v69
	;; [unrolled: 1-line block ×3, first 2 shown]
	v_fma_f16 v0, -0.5, v0, v41
	v_sub_f16_e32 v67, v40, v58
	v_add_f16_e32 v4, v4, v98
	v_lshrrev_b32_e32 v50, 16, v41
	v_fma_f16 v2, v5, v92, -v2
	v_fmac_f16_e32 v10, v6, v69
	v_fma_f16 v5, v6, v94, -v3
	v_fmac_f16_e32 v54, v7, v53
	v_fmamk_f16 v3, v67, 0xbb9c, v0
	v_sub_f16_e32 v69, v51, v55
	v_sub_f16_e32 v6, v88, v98
	;; [unrolled: 1-line block ×3, first 2 shown]
	v_add_f16_e32 v79, v88, v70
	v_mul_f16_e64 v53, v150, v53
	v_add_f16_e32 v80, v4, v104
	v_fmac_f16_e32 v0, 0x3b9c, v67
	v_fmac_f16_e32 v3, 0xb8b4, v69
	v_add_f16_e32 v81, v6, v11
	v_fma_f16 v4, -0.5, v79, v41
	v_fma_f16 v11, v7, v96, -v53
	v_add_f16_e32 v6, v80, v70
	v_sub_f16_e32 v41, v98, v88
	v_sub_f16_e32 v53, v104, v70
	v_fmac_f16_e32 v0, 0x38b4, v69
	v_add_f16_e32 v79, v50, v40
	v_add_f16_e32 v80, v51, v55
	v_fmac_f16_e32 v3, 0x34f2, v81
	v_fmamk_f16 v7, v69, 0x3b9c, v4
	v_add_f16_e32 v41, v41, v53
	v_fmac_f16_e32 v4, 0xbb9c, v69
	v_add_f16_e32 v53, v79, v51
	v_fma_f16 v69, -0.5, v80, v50
	v_sub_f16_e32 v70, v88, v70
	v_fmac_f16_e32 v0, 0x34f2, v81
	v_add_f16_e32 v79, v40, v58
	v_sub_f16_e32 v81, v40, v51
	v_sub_f16_e32 v40, v51, v40
	;; [unrolled: 1-line block ×3, first 2 shown]
	v_fmac_f16_e32 v7, 0xb8b4, v67
	v_fmac_f16_e32 v4, 0x38b4, v67
	v_add_f16_e32 v53, v53, v55
	v_fmamk_f16 v67, v70, 0x3b9c, v69
	v_sub_f16_e32 v80, v98, v104
	v_sub_f16_e32 v82, v58, v55
	v_fmac_f16_e32 v50, -0.5, v79
	v_fmac_f16_e32 v69, 0xbb9c, v70
	v_add_f16_e32 v55, v106, v52
	v_add_f16_e32 v40, v40, v51
	v_add_f16_e32 v51, v42, v73
	v_lshrrev_b32_e32 v49, 16, v42
	v_fmac_f16_e32 v7, 0x34f2, v41
	v_fmac_f16_e32 v4, 0x34f2, v41
	v_add_f16_e32 v41, v53, v58
	v_fmac_f16_e32 v67, 0x38b4, v80
	v_add_f16_e32 v53, v81, v82
	v_fmamk_f16 v79, v80, 0xbb9c, v50
	v_fmac_f16_e32 v69, 0xb8b4, v80
	v_fma_f16 v55, -0.5, v55, v42
	v_sub_f16_e32 v58, v56, v59
	v_fmac_f16_e32 v50, 0x3b9c, v80
	v_add_f16_e32 v51, v51, v106
	v_add_f16_e32 v83, v73, v74
	v_fmac_f16_e32 v67, 0x34f2, v53
	v_fmac_f16_e32 v79, 0x38b4, v70
	;; [unrolled: 1-line block ×3, first 2 shown]
	v_fmamk_f16 v53, v58, 0xbb9c, v55
	v_sub_f16_e32 v80, v75, v60
	v_sub_f16_e32 v81, v73, v106
	;; [unrolled: 1-line block ×3, first 2 shown]
	v_fmac_f16_e32 v50, 0xb8b4, v70
	v_add_f16_e32 v51, v51, v52
	v_fmac_f16_e32 v42, -0.5, v83
	v_fmac_f16_e32 v55, 0x3b9c, v58
	v_add_f16_e32 v83, v49, v56
	v_fmac_f16_e32 v79, 0x34f2, v40
	v_fmac_f16_e32 v53, 0xb8b4, v80
	v_add_f16_e32 v70, v81, v82
	v_fmac_f16_e32 v50, 0x34f2, v40
	v_add_f16_e32 v40, v51, v74
	v_fmamk_f16 v51, v80, 0x3b9c, v42
	v_sub_f16_e32 v81, v106, v73
	v_sub_f16_e32 v82, v52, v74
	v_fmac_f16_e32 v55, 0x38b4, v80
	v_add_f16_e32 v84, v75, v60
	v_fmac_f16_e32 v42, 0xbb9c, v80
	v_add_f16_e32 v80, v83, v75
	;; [unrolled: 2-line block ×3, first 2 shown]
	v_fma_f16 v82, -0.5, v84, v49
	v_sub_f16_e32 v73, v73, v74
	v_fmac_f16_e32 v42, 0x38b4, v58
	v_add_f16_e32 v58, v80, v60
	v_add_f16_e32 v74, v56, v59
	v_fmac_f16_e32 v53, 0x34f2, v70
	v_fmac_f16_e32 v55, 0x34f2, v70
	v_fmamk_f16 v70, v73, 0x3b9c, v82
	v_sub_f16_e32 v52, v106, v52
	v_sub_f16_e32 v80, v56, v75
	;; [unrolled: 1-line block ×3, first 2 shown]
	v_fmac_f16_e32 v49, -0.5, v74
	v_add_f16_e32 v58, v58, v59
	v_fmac_f16_e32 v82, 0xbb9c, v73
	v_sub_f16_e32 v56, v75, v56
	v_sub_f16_e32 v59, v60, v59
	v_add_f16_e32 v60, v76, v77
	v_lshrrev_b32_e32 v48, 16, v43
	v_fmac_f16_e32 v70, 0x38b4, v52
	v_add_f16_e32 v74, v80, v83
	v_fmamk_f16 v80, v52, 0xbb9c, v49
	v_fmac_f16_e32 v82, 0xb8b4, v52
	v_add_f16_e32 v56, v56, v59
	v_add_f16_e32 v59, v43, v71
	v_fma_f16 v60, -0.5, v60, v43
	v_sub_f16_e32 v75, v12, v15
	v_fmac_f16_e32 v49, 0x3b9c, v52
	v_add_f16_e32 v84, v71, v57
	v_fmac_f16_e32 v51, 0x34f2, v81
	v_fmac_f16_e32 v42, 0x34f2, v81
	;; [unrolled: 1-line block ×5, first 2 shown]
	v_add_f16_e32 v52, v59, v76
	v_fmamk_f16 v59, v75, 0xbb9c, v60
	v_sub_f16_e32 v74, v13, v14
	v_sub_f16_e32 v81, v71, v76
	v_sub_f16_e32 v83, v57, v77
	v_fmac_f16_e32 v49, 0xb8b4, v73
	v_fma_f16 v43, -0.5, v84, v43
	v_fmac_f16_e32 v60, 0x3b9c, v75
	v_add_f16_e32 v84, v48, v12
	v_fmac_f16_e32 v80, 0x34f2, v56
	v_add_f16_e32 v52, v52, v77
	;; [unrolled: 2-line block ×3, first 2 shown]
	v_fmac_f16_e32 v49, 0x34f2, v56
	v_fmamk_f16 v56, v74, 0x3b9c, v43
	v_sub_f16_e32 v81, v76, v71
	v_sub_f16_e32 v83, v77, v57
	v_fmac_f16_e32 v60, 0x38b4, v74
	v_add_f16_e32 v85, v13, v14
	v_fmac_f16_e32 v43, 0xbb9c, v74
	v_add_f16_e32 v74, v84, v13
	v_add_f16_e32 v52, v52, v57
	v_fmac_f16_e32 v56, 0xb8b4, v75
	v_add_f16_e32 v81, v81, v83
	v_fma_f16 v83, -0.5, v85, v48
	v_sub_f16_e32 v57, v71, v57
	v_fmac_f16_e32 v43, 0x38b4, v75
	v_add_f16_e32 v71, v74, v14
	v_add_f16_e32 v74, v12, v15
	v_sub_f16_e32 v75, v76, v77
	v_sub_f16_e32 v76, v12, v13
	;; [unrolled: 1-line block ×4, first 2 shown]
	v_fmac_f16_e32 v59, 0x34f2, v73
	v_fmac_f16_e32 v60, 0x34f2, v73
	v_fmamk_f16 v73, v57, 0x3b9c, v83
	v_sub_f16_e32 v77, v15, v14
	v_fmac_f16_e32 v48, -0.5, v74
	v_fmac_f16_e32 v83, 0xbb9c, v57
	v_add_f16_e32 v14, v64, v66
	v_add_f16_e32 v12, v12, v13
	;; [unrolled: 1-line block ×3, first 2 shown]
	v_lshrrev_b32_e32 v47, 16, v44
	v_add_f16_e32 v71, v71, v15
	v_fmac_f16_e32 v73, 0x38b4, v75
	v_add_f16_e32 v74, v76, v77
	v_fmamk_f16 v76, v75, 0xbb9c, v48
	v_fmac_f16_e32 v83, 0xb8b4, v75
	v_fma_f16 v14, -0.5, v14, v44
	v_sub_f16_e32 v15, v62, v65
	v_fmac_f16_e32 v48, 0x3b9c, v75
	v_add_f16_e32 v13, v13, v64
	v_add_f16_e32 v84, v61, v78
	v_fmac_f16_e32 v56, 0x34f2, v81
	v_fmac_f16_e32 v43, 0x34f2, v81
	;; [unrolled: 1-line block ×5, first 2 shown]
	v_fmamk_f16 v74, v15, 0xbb9c, v14
	v_sub_f16_e32 v75, v63, v68
	v_sub_f16_e32 v77, v61, v64
	v_sub_f16_e32 v81, v78, v66
	v_fmac_f16_e32 v48, 0xb8b4, v57
	v_add_f16_e32 v13, v13, v66
	v_fmac_f16_e32 v44, -0.5, v84
	v_fmac_f16_e32 v14, 0x3b9c, v15
	v_add_f16_e32 v84, v47, v62
	v_fmac_f16_e32 v76, 0x34f2, v12
	v_fmac_f16_e32 v74, 0xb8b4, v75
	v_add_f16_e32 v57, v77, v81
	v_fmac_f16_e32 v48, 0x34f2, v12
	v_add_f16_e32 v12, v13, v78
	v_fmamk_f16 v13, v75, 0x3b9c, v44
	v_sub_f16_e32 v77, v64, v61
	v_sub_f16_e32 v81, v66, v78
	v_fmac_f16_e32 v14, 0x38b4, v75
	v_add_f16_e32 v85, v63, v68
	v_fmac_f16_e32 v44, 0xbb9c, v75
	v_add_f16_e32 v75, v84, v63
	;; [unrolled: 2-line block ×3, first 2 shown]
	v_fma_f16 v81, -0.5, v85, v47
	v_sub_f16_e32 v61, v61, v78
	v_fmac_f16_e32 v44, 0x38b4, v15
	v_add_f16_e32 v15, v75, v68
	v_add_f16_e32 v75, v62, v65
	v_fmac_f16_e32 v74, 0x34f2, v57
	v_fmac_f16_e32 v14, 0x34f2, v57
	v_fmamk_f16 v57, v61, 0x3b9c, v81
	v_sub_f16_e32 v64, v64, v66
	v_sub_f16_e32 v66, v62, v63
	;; [unrolled: 1-line block ×3, first 2 shown]
	v_fmac_f16_e32 v47, -0.5, v75
	v_add_f16_e32 v15, v15, v65
	v_fmac_f16_e32 v81, 0xbb9c, v61
	v_sub_f16_e32 v62, v63, v62
	v_sub_f16_e32 v63, v68, v65
	v_add_f16_e32 v65, v8, v10
	v_fmac_f16_e32 v57, 0x38b4, v64
	v_add_f16_e32 v66, v66, v78
	v_fmamk_f16 v75, v64, 0xbb9c, v47
	v_fmac_f16_e32 v81, 0xb8b4, v64
	v_add_f16_e32 v62, v62, v63
	v_fmac_f16_e32 v47, 0x3b9c, v64
	v_add_f16_e32 v63, v39, v9
	v_fma_f16 v64, -0.5, v65, v39
	v_sub_f16_e32 v65, v1, v11
	v_fmac_f16_e32 v13, 0x34f2, v77
	v_fmac_f16_e32 v44, 0x34f2, v77
	;; [unrolled: 1-line block ×6, first 2 shown]
	v_add_f16_e32 v61, v63, v8
	v_fmamk_f16 v63, v65, 0xbb9c, v64
	v_sub_f16_e32 v66, v2, v5
	v_sub_f16_e32 v68, v9, v8
	;; [unrolled: 1-line block ×3, first 2 shown]
	v_fmac_f16_e32 v64, 0x3b9c, v65
	v_add_f16_e32 v78, v9, v54
	v_lshrrev_b32_e32 v46, 16, v39
	v_add_f16_e32 v61, v61, v10
	v_fmac_f16_e32 v63, 0xb8b4, v66
	v_add_f16_e32 v68, v68, v77
	v_fmac_f16_e32 v64, 0x38b4, v66
	v_fmac_f16_e32 v39, -0.5, v78
	v_sub_f16_e32 v77, v8, v9
	v_sub_f16_e32 v78, v10, v54
	v_fmac_f16_e32 v75, 0x34f2, v62
	v_fmac_f16_e32 v47, 0x34f2, v62
	v_add_f16_e32 v61, v61, v54
	v_fmac_f16_e32 v63, 0x34f2, v68
	v_fmac_f16_e32 v64, 0x34f2, v68
	v_fmamk_f16 v62, v66, 0x3b9c, v39
	v_add_f16_e32 v68, v2, v5
	v_fmac_f16_e32 v39, 0xbb9c, v66
	v_sub_f16_e32 v9, v9, v54
	v_add_f16_e32 v54, v77, v78
	v_add_f16_e32 v77, v1, v11
	;; [unrolled: 1-line block ×3, first 2 shown]
	v_fma_f16 v68, -0.5, v68, v46
	v_fmac_f16_e32 v62, 0xb8b4, v65
	v_fmac_f16_e32 v39, 0x38b4, v65
	v_sub_f16_e32 v8, v8, v10
	v_fmac_f16_e32 v46, -0.5, v77
	v_add_f16_e32 v65, v66, v2
	v_fmac_f16_e32 v62, 0x34f2, v54
	v_fmac_f16_e32 v39, 0x34f2, v54
	v_sub_f16_e32 v54, v1, v2
	v_fmamk_f16 v77, v8, 0xbb9c, v46
	v_sub_f16_e32 v1, v2, v1
	v_sub_f16_e32 v2, v5, v11
	v_fmac_f16_e32 v46, 0x3b9c, v8
	v_fmamk_f16 v66, v9, 0x3b9c, v68
	v_add_f16_e32 v10, v65, v5
	v_sub_f16_e32 v65, v11, v5
	v_fmac_f16_e32 v68, 0xbb9c, v9
	v_fmac_f16_e32 v77, 0x38b4, v9
	v_add_f16_e32 v1, v1, v2
	v_fmac_f16_e32 v46, 0xb8b4, v9
	v_fmac_f16_e32 v66, 0x38b4, v8
	v_add_f16_e32 v5, v54, v65
	v_fmac_f16_e32 v68, 0xb8b4, v8
	v_fmac_f16_e32 v77, 0x34f2, v1
	;; [unrolled: 1-line block ×3, first 2 shown]
	v_pack_b32_f16 v1, v6, v41
	v_pack_b32_f16 v3, v3, v67
	v_fmac_f16_e32 v66, 0x34f2, v5
	v_fmac_f16_e32 v68, 0x34f2, v5
	v_pack_b32_f16 v5, v7, v79
	v_pack_b32_f16 v4, v4, v50
	;; [unrolled: 1-line block ×6, first 2 shown]
	ds_store_2addr_b32 v72, v1, v3 offset1:17
	ds_store_2addr_b32 v72, v5, v4 offset0:34 offset1:51
	ds_store_2addr_b32 v72, v0, v6 offset0:68 offset1:85
	;; [unrolled: 1-line block ×3, first 2 shown]
	v_pack_b32_f16 v0, v42, v49
	v_pack_b32_f16 v1, v55, v82
	;; [unrolled: 1-line block ×4, first 2 shown]
	v_add_f16_e32 v2, v10, v11
	v_pack_b32_f16 v5, v56, v76
	v_pack_b32_f16 v6, v43, v48
	;; [unrolled: 1-line block ×4, first 2 shown]
	v_add_nc_u32_e32 v9, 0x200, v114
	ds_store_2addr_b32 v72, v0, v1 offset0:136 offset1:153
	ds_store_2addr_b32 v113, v3, v4 offset0:170 offset1:187
	;; [unrolled: 1-line block ×3, first 2 shown]
	v_pack_b32_f16 v1, v13, v75
	v_pack_b32_f16 v3, v44, v47
	v_add_nc_u32_e32 v4, 0x400, v114
	v_pack_b32_f16 v2, v61, v2
	v_pack_b32_f16 v5, v63, v66
	v_add_nc_u32_e32 v6, 0x400, v111
	ds_store_2addr_b32 v9, v7, v8 offset0:127 offset1:144
	v_pack_b32_f16 v7, v62, v77
	v_pack_b32_f16 v8, v39, v46
	;; [unrolled: 1-line block ×3, first 2 shown]
	ds_store_2addr_b32 v4, v1, v3 offset0:33 offset1:50
	v_pack_b32_f16 v1, v14, v81
	v_pack_b32_f16 v3, v64, v68
	ds_store_2addr_b32 v6, v2, v5 offset0:84 offset1:101
	ds_store_2addr_b32 v6, v7, v8 offset0:118 offset1:135
	ds_store_b32 v113, v0 offset:952
	ds_store_b32 v114, v1 offset:1292
	;; [unrolled: 1-line block ×3, first 2 shown]
	global_wb scope:SCOPE_SE
	s_wait_dscnt 0x0
	s_barrier_signal -1
	s_barrier_wait -1
	global_inv scope:SCOPE_SE
	ds_load_2addr_b32 v[4:5], v72 offset1:17
	ds_load_2addr_b32 v[0:1], v72 offset0:68 offset1:85
	ds_load_2addr_b32 v[11:12], v72 offset0:170 offset1:187
	;; [unrolled: 1-line block ×11, first 2 shown]
	ds_load_b32 v57, v72 offset:1632
	s_wait_dscnt 0xc
	v_lshrrev_b32_e32 v10, 16, v4
	s_wait_dscnt 0xb
	v_lshrrev_b32_e32 v13, 16, v1
	;; [unrolled: 2-line block ×6, first 2 shown]
	v_mul_f16_e32 v70, v125, v13
	v_mul_f16_e32 v76, v124, v52
	;; [unrolled: 1-line block ×5, first 2 shown]
	v_fmac_f16_e32 v70, v24, v1
	v_mul_f16_e32 v1, v125, v1
	v_lshrrev_b32_e32 v59, 16, v12
	s_wait_dscnt 0x6
	v_lshrrev_b32_e32 v60, 16, v43
	v_lshrrev_b32_e32 v61, 16, v40
	v_fmac_f16_e32 v76, v25, v11
	v_fma_f16 v24, v24, v13, -v1
	v_fma_f16 v25, v25, v52, -v77
	v_fmac_f16_e32 v78, v26, v15
	v_fma_f16 v26, v26, v53, -v79
	v_mul_f16_e64 v52, v144, v56
	v_mul_f16_e64 v1, v144, v39
	;; [unrolled: 1-line block ×4, first 2 shown]
	v_lshrrev_b32_e32 v62, 16, v42
	s_wait_dscnt 0x4
	v_lshrrev_b32_e32 v63, 16, v46
	v_lshrrev_b32_e32 v64, 16, v44
	v_mul_f16_e32 v77, v126, v59
	v_fmac_f16_e32 v52, v27, v39
	v_fma_f16 v27, v27, v56, -v1
	v_fmac_f16_e32 v53, v32, v41
	v_fma_f16 v32, v32, v58, -v11
	v_mul_f16_e32 v1, v126, v12
	v_mul_f16_e64 v39, v141, v60
	v_mul_f16_e64 v11, v141, v43
	;; [unrolled: 1-line block ×3, first 2 shown]
	s_wait_dscnt 0x3
	v_lshrrev_b32_e32 v65, 16, v48
	s_wait_dscnt 0x2
	v_lshrrev_b32_e32 v66, 16, v50
	v_fmac_f16_e32 v77, v33, v12
	v_mul_f16_e64 v12, v140, v40
	v_fma_f16 v33, v33, v59, -v1
	v_fmac_f16_e32 v39, v34, v43
	v_fma_f16 v34, v34, v60, -v11
	v_fmac_f16_e32 v41, v35, v40
	v_mul_f16_e64 v40, v139, v62
	v_mul_f16_e64 v1, v139, v42
	;; [unrolled: 1-line block ×5, first 2 shown]
	v_lshrrev_b32_e32 v67, 16, v47
	s_wait_dscnt 0x1
	v_lshrrev_b32_e32 v68, 16, v54
	v_lshrrev_b32_e32 v73, 16, v14
	v_fma_f16 v35, v35, v61, -v12
	v_fmac_f16_e32 v40, v28, v42
	v_fma_f16 v28, v28, v62, -v1
	v_fmac_f16_e32 v43, v29, v46
	;; [unrolled: 2-line block ×3, first 2 shown]
	v_mul_f16_e64 v1, v137, v44
	v_mul_f16_e64 v42, v136, v65
	;; [unrolled: 1-line block ×5, first 2 shown]
	v_lshrrev_b32_e32 v69, 16, v49
	v_lshrrev_b32_e32 v71, 16, v51
	;; [unrolled: 1-line block ×3, first 2 shown]
	s_wait_dscnt 0x0
	v_lshrrev_b32_e32 v75, 16, v57
	v_fma_f16 v30, v30, v64, -v1
	v_fmac_f16_e32 v42, v31, v48
	v_fma_f16 v31, v31, v65, -v11
	v_fmac_f16_e32 v44, v20, v50
	v_fma_f16 v46, v20, v66, -v12
	v_mul_f16_e64 v48, v134, v67
	v_mul_f16_e64 v1, v134, v47
	;; [unrolled: 1-line block ×7, first 2 shown]
	v_fmac_f16_e32 v48, v21, v47
	v_fma_f16 v21, v21, v67, -v1
	v_fmac_f16_e32 v50, v22, v54
	v_fma_f16 v22, v22, v68, -v11
	v_mul_f16_e64 v1, v132, v49
	v_mul_f16_e64 v15, v149, v71
	;; [unrolled: 1-line block ×3, first 2 shown]
	v_fmac_f16_e32 v13, v17, v14
	v_fma_f16 v12, v17, v73, -v12
	v_mul_f16_e64 v17, v129, v74
	v_mul_f16_e64 v14, v129, v55
	;; [unrolled: 1-line block ×3, first 2 shown]
	v_add_f16_e32 v20, v4, v70
	v_fmac_f16_e32 v58, v23, v49
	v_fma_f16 v23, v23, v69, -v1
	v_fmac_f16_e32 v15, v16, v51
	v_fma_f16 v11, v16, v71, -v11
	v_add_f16_e32 v1, v76, v78
	v_fmac_f16_e32 v17, v18, v55
	v_fma_f16 v16, v18, v74, -v14
	v_fmac_f16_e32 v47, v19, v57
	v_add_f16_e32 v18, v20, v76
	v_sub_f16_e32 v51, v70, v76
	v_sub_f16_e32 v54, v52, v78
	v_add_f16_e32 v55, v70, v52
	v_mul_f16_e64 v57, v128, v57
	v_fma_f16 v1, -0.5, v1, v4
	v_sub_f16_e32 v49, v24, v27
	v_sub_f16_e32 v20, v25, v26
	v_add_f16_e32 v18, v18, v78
	v_add_f16_e32 v51, v51, v54
	v_fma_f16 v4, -0.5, v55, v4
	v_fma_f16 v54, v19, v75, -v57
	v_sub_f16_e32 v55, v76, v70
	v_sub_f16_e32 v57, v78, v52
	v_add_f16_e32 v59, v10, v24
	v_fmamk_f16 v14, v49, 0xbb9c, v1
	v_add_f16_e32 v19, v18, v52
	v_fmac_f16_e32 v1, 0x3b9c, v49
	v_fmamk_f16 v18, v20, 0x3b9c, v4
	v_add_f16_e32 v60, v25, v26
	v_add_f16_e32 v55, v55, v57
	v_fmac_f16_e32 v4, 0xbb9c, v20
	v_add_f16_e32 v57, v59, v25
	v_fmac_f16_e32 v14, 0xb8b4, v20
	v_fmac_f16_e32 v1, 0x38b4, v20
	;; [unrolled: 1-line block ×3, first 2 shown]
	v_fma_f16 v20, -0.5, v60, v10
	v_sub_f16_e32 v52, v70, v52
	v_fmac_f16_e32 v4, 0x38b4, v49
	v_add_f16_e32 v49, v57, v26
	v_add_f16_e32 v57, v24, v27
	v_sub_f16_e32 v60, v24, v25
	v_sub_f16_e32 v24, v25, v24
	;; [unrolled: 1-line block ×3, first 2 shown]
	v_fmac_f16_e32 v14, 0x34f2, v51
	v_fmac_f16_e32 v1, 0x34f2, v51
	v_fmamk_f16 v51, v52, 0x3b9c, v20
	v_sub_f16_e32 v59, v76, v78
	v_sub_f16_e32 v61, v27, v26
	v_fmac_f16_e32 v10, -0.5, v57
	v_fmac_f16_e32 v20, 0xbb9c, v52
	v_add_f16_e32 v26, v77, v39
	v_add_f16_e32 v24, v24, v25
	;; [unrolled: 1-line block ×3, first 2 shown]
	v_lshrrev_b32_e32 v9, 16, v5
	v_fmac_f16_e32 v18, 0x34f2, v55
	v_fmac_f16_e32 v4, 0x34f2, v55
	v_add_f16_e32 v49, v49, v27
	v_fmac_f16_e32 v51, 0x38b4, v59
	v_add_f16_e32 v55, v60, v61
	v_fmamk_f16 v57, v59, 0xbb9c, v10
	v_fmac_f16_e32 v20, 0xb8b4, v59
	v_fma_f16 v26, -0.5, v26, v5
	v_sub_f16_e32 v27, v32, v35
	v_fmac_f16_e32 v10, 0x3b9c, v59
	v_add_f16_e32 v25, v25, v77
	v_add_f16_e32 v62, v53, v41
	v_fmac_f16_e32 v51, 0x34f2, v55
	v_fmac_f16_e32 v57, 0x38b4, v52
	;; [unrolled: 1-line block ×3, first 2 shown]
	v_fmamk_f16 v55, v27, 0xbb9c, v26
	v_sub_f16_e32 v59, v33, v34
	v_sub_f16_e32 v60, v53, v77
	;; [unrolled: 1-line block ×3, first 2 shown]
	v_fmac_f16_e32 v10, 0xb8b4, v52
	v_add_f16_e32 v25, v25, v39
	v_fmac_f16_e32 v5, -0.5, v62
	v_fmac_f16_e32 v26, 0x3b9c, v27
	v_add_f16_e32 v62, v9, v32
	v_fmac_f16_e32 v57, 0x34f2, v24
	v_fmac_f16_e32 v55, 0xb8b4, v59
	v_add_f16_e32 v52, v60, v61
	v_fmac_f16_e32 v10, 0x34f2, v24
	v_add_f16_e32 v24, v25, v41
	v_fmamk_f16 v25, v59, 0x3b9c, v5
	v_sub_f16_e32 v60, v77, v53
	v_sub_f16_e32 v61, v39, v41
	v_fmac_f16_e32 v26, 0x38b4, v59
	v_add_f16_e32 v63, v33, v34
	v_fmac_f16_e32 v5, 0xbb9c, v59
	v_add_f16_e32 v59, v62, v33
	v_fmac_f16_e32 v25, 0xb8b4, v27
	v_add_f16_e32 v60, v60, v61
	v_fma_f16 v61, -0.5, v63, v9
	v_sub_f16_e32 v41, v53, v41
	v_fmac_f16_e32 v5, 0x38b4, v27
	v_add_f16_e32 v27, v59, v34
	v_add_f16_e32 v53, v32, v35
	v_sub_f16_e32 v59, v32, v33
	v_sub_f16_e32 v32, v33, v32
	;; [unrolled: 1-line block ×3, first 2 shown]
	v_fmac_f16_e32 v55, 0x34f2, v52
	v_fmac_f16_e32 v26, 0x34f2, v52
	v_fmamk_f16 v52, v41, 0x3b9c, v61
	v_sub_f16_e32 v39, v77, v39
	v_sub_f16_e32 v62, v35, v34
	v_fmac_f16_e32 v9, -0.5, v53
	v_fmac_f16_e32 v61, 0xbb9c, v41
	v_add_f16_e32 v34, v43, v56
	v_add_f16_e32 v32, v32, v33
	;; [unrolled: 1-line block ×3, first 2 shown]
	v_lshrrev_b32_e32 v8, 16, v2
	v_add_f16_e32 v27, v27, v35
	v_fmac_f16_e32 v52, 0x38b4, v39
	v_add_f16_e32 v53, v59, v62
	v_fmamk_f16 v59, v39, 0xbb9c, v9
	v_fmac_f16_e32 v61, 0xb8b4, v39
	v_fma_f16 v34, -0.5, v34, v2
	v_sub_f16_e32 v35, v28, v31
	v_fmac_f16_e32 v9, 0x3b9c, v39
	v_add_f16_e32 v33, v33, v43
	v_add_f16_e32 v63, v40, v42
	v_fmac_f16_e32 v25, 0x34f2, v60
	v_fmac_f16_e32 v5, 0x34f2, v60
	;; [unrolled: 1-line block ×5, first 2 shown]
	v_fmamk_f16 v39, v35, 0xbb9c, v34
	v_sub_f16_e32 v53, v29, v30
	v_sub_f16_e32 v60, v40, v43
	;; [unrolled: 1-line block ×3, first 2 shown]
	v_fmac_f16_e32 v9, 0xb8b4, v41
	v_add_f16_e32 v33, v33, v56
	v_fma_f16 v2, -0.5, v63, v2
	v_fmac_f16_e32 v34, 0x3b9c, v35
	v_add_f16_e32 v63, v8, v28
	v_fmac_f16_e32 v59, 0x34f2, v32
	v_fmac_f16_e32 v39, 0xb8b4, v53
	v_add_f16_e32 v41, v60, v62
	v_fmac_f16_e32 v9, 0x34f2, v32
	v_add_f16_e32 v32, v33, v42
	v_fmamk_f16 v33, v53, 0x3b9c, v2
	v_sub_f16_e32 v60, v43, v40
	v_sub_f16_e32 v62, v56, v42
	v_fmac_f16_e32 v34, 0x38b4, v53
	v_add_f16_e32 v64, v29, v30
	v_fmac_f16_e32 v2, 0xbb9c, v53
	v_add_f16_e32 v53, v63, v29
	;; [unrolled: 2-line block ×3, first 2 shown]
	v_fma_f16 v62, -0.5, v64, v8
	v_sub_f16_e32 v40, v40, v42
	v_fmac_f16_e32 v2, 0x38b4, v35
	v_add_f16_e32 v35, v53, v30
	v_add_f16_e32 v42, v28, v31
	v_sub_f16_e32 v53, v28, v29
	v_sub_f16_e32 v28, v29, v28
	v_sub_f16_e32 v29, v30, v31
	v_fmac_f16_e32 v39, 0x34f2, v41
	v_fmac_f16_e32 v34, 0x34f2, v41
	v_fmamk_f16 v41, v40, 0x3b9c, v62
	v_sub_f16_e32 v43, v43, v56
	v_sub_f16_e32 v56, v31, v30
	v_fmac_f16_e32 v8, -0.5, v42
	v_fmac_f16_e32 v62, 0xbb9c, v40
	v_add_f16_e32 v30, v48, v50
	v_add_f16_e32 v28, v28, v29
	;; [unrolled: 1-line block ×3, first 2 shown]
	v_lshrrev_b32_e32 v7, 16, v3
	v_add_f16_e32 v35, v35, v31
	v_fmac_f16_e32 v41, 0x38b4, v43
	v_add_f16_e32 v42, v53, v56
	v_fmamk_f16 v53, v43, 0xbb9c, v8
	v_fmac_f16_e32 v62, 0xb8b4, v43
	v_fma_f16 v30, -0.5, v30, v3
	v_sub_f16_e32 v31, v46, v23
	v_fmac_f16_e32 v8, 0x3b9c, v43
	v_add_f16_e32 v29, v29, v48
	v_add_f16_e32 v63, v44, v58
	v_fmac_f16_e32 v33, 0x34f2, v60
	v_fmac_f16_e32 v2, 0x34f2, v60
	;; [unrolled: 1-line block ×5, first 2 shown]
	v_fmamk_f16 v42, v31, 0xbb9c, v30
	v_sub_f16_e32 v43, v21, v22
	v_sub_f16_e32 v56, v44, v48
	;; [unrolled: 1-line block ×3, first 2 shown]
	v_fmac_f16_e32 v8, 0xb8b4, v40
	v_add_f16_e32 v29, v29, v50
	v_fmac_f16_e32 v3, -0.5, v63
	v_fmac_f16_e32 v30, 0x3b9c, v31
	v_add_f16_e32 v63, v7, v46
	v_fmac_f16_e32 v53, 0x34f2, v28
	v_fmac_f16_e32 v42, 0xb8b4, v43
	v_add_f16_e32 v40, v56, v60
	v_fmac_f16_e32 v8, 0x34f2, v28
	v_add_f16_e32 v28, v29, v58
	v_fmamk_f16 v29, v43, 0x3b9c, v3
	v_sub_f16_e32 v56, v48, v44
	v_sub_f16_e32 v60, v50, v58
	v_fmac_f16_e32 v30, 0x38b4, v43
	v_add_f16_e32 v64, v21, v22
	v_fmac_f16_e32 v3, 0xbb9c, v43
	v_add_f16_e32 v43, v63, v21
	;; [unrolled: 2-line block ×3, first 2 shown]
	v_fma_f16 v60, -0.5, v64, v7
	v_sub_f16_e32 v44, v44, v58
	v_fmac_f16_e32 v3, 0x38b4, v31
	v_add_f16_e32 v31, v43, v22
	v_add_f16_e32 v43, v46, v23
	v_fmac_f16_e32 v42, 0x34f2, v40
	v_fmac_f16_e32 v30, 0x34f2, v40
	v_fmamk_f16 v40, v44, 0x3b9c, v60
	v_sub_f16_e32 v48, v48, v50
	v_sub_f16_e32 v50, v46, v21
	;; [unrolled: 1-line block ×3, first 2 shown]
	v_fmac_f16_e32 v7, -0.5, v43
	v_add_f16_e32 v31, v31, v23
	v_fmac_f16_e32 v60, 0xbb9c, v44
	v_sub_f16_e32 v22, v22, v23
	v_add_f16_e32 v23, v13, v17
	v_fmac_f16_e32 v40, 0x38b4, v48
	v_add_f16_e32 v43, v50, v58
	v_fmamk_f16 v50, v48, 0xbb9c, v7
	v_sub_f16_e32 v21, v21, v46
	v_fmac_f16_e32 v60, 0xb8b4, v48
	v_fmac_f16_e32 v7, 0x3b9c, v48
	v_fma_f16 v23, -0.5, v23, v0
	v_sub_f16_e32 v46, v11, v54
	v_fmac_f16_e32 v29, 0x34f2, v56
	v_fmac_f16_e32 v3, 0x34f2, v56
	;; [unrolled: 1-line block ×4, first 2 shown]
	v_add_f16_e32 v21, v21, v22
	v_add_f16_e32 v22, v0, v15
	v_fmac_f16_e32 v60, 0x34f2, v43
	v_fmac_f16_e32 v7, 0xb8b4, v44
	v_fmamk_f16 v43, v46, 0xbb9c, v23
	v_sub_f16_e32 v44, v12, v16
	v_sub_f16_e32 v48, v15, v13
	v_sub_f16_e32 v56, v47, v17
	v_fmac_f16_e32 v23, 0x3b9c, v46
	v_lshrrev_b32_e32 v6, 16, v0
	v_add_f16_e32 v22, v22, v13
	v_add_f16_e32 v58, v15, v47
	v_fmac_f16_e32 v43, 0xb8b4, v44
	v_add_f16_e32 v48, v48, v56
	v_fmac_f16_e32 v23, 0x38b4, v44
	v_add_f16_e32 v22, v22, v17
	v_fmac_f16_e32 v0, -0.5, v58
	v_add_f16_e32 v56, v12, v16
	v_fmac_f16_e32 v43, 0x34f2, v48
	v_fmac_f16_e32 v23, 0x34f2, v48
	v_add_f16_e32 v48, v6, v11
	v_fmac_f16_e32 v50, 0x34f2, v21
	v_fmac_f16_e32 v7, 0x34f2, v21
	v_add_f16_e32 v21, v22, v47
	v_fmamk_f16 v22, v44, 0x3b9c, v0
	v_fmac_f16_e32 v0, 0xbb9c, v44
	v_add_f16_e32 v44, v48, v12
	v_fma_f16 v48, -0.5, v56, v6
	v_add_f16_e32 v56, v11, v54
	v_sub_f16_e32 v58, v13, v15
	v_sub_f16_e32 v13, v13, v17
	v_add_f16_e32 v44, v44, v16
	v_sub_f16_e32 v63, v17, v47
	v_fmac_f16_e32 v6, -0.5, v56
	v_sub_f16_e32 v15, v15, v47
	v_fmac_f16_e32 v22, 0xb8b4, v46
	v_add_f16_e32 v17, v44, v54
	v_sub_f16_e32 v44, v11, v12
	v_fmamk_f16 v56, v13, 0xbb9c, v6
	v_sub_f16_e32 v11, v12, v11
	v_sub_f16_e32 v12, v16, v54
	v_fmac_f16_e32 v6, 0x3b9c, v13
	v_add_f16_e32 v47, v58, v63
	v_fmac_f16_e32 v0, 0x38b4, v46
	v_fmac_f16_e32 v56, 0x38b4, v15
	v_add_f16_e32 v11, v11, v12
	v_fmac_f16_e32 v6, 0xb8b4, v15
	v_fmamk_f16 v46, v15, 0x3b9c, v48
	v_fmac_f16_e32 v48, 0xbb9c, v15
	v_pack_b32_f16 v12, v19, v49
	v_fmac_f16_e32 v22, 0x34f2, v47
	v_fmac_f16_e32 v0, 0x34f2, v47
	v_sub_f16_e32 v47, v54, v16
	v_fmac_f16_e32 v56, 0x34f2, v11
	v_fmac_f16_e32 v6, 0x34f2, v11
	v_pack_b32_f16 v11, v14, v51
	v_pack_b32_f16 v4, v4, v10
	;; [unrolled: 1-line block ×3, first 2 shown]
	v_fmac_f16_e32 v46, 0x38b4, v13
	v_fmac_f16_e32 v48, 0xb8b4, v13
	ds_store_b32 v72, v12
	v_pack_b32_f16 v12, v18, v57
	v_pack_b32_f16 v13, v25, v59
	;; [unrolled: 1-line block ×3, first 2 shown]
	v_add_nc_u32_e32 v9, 0x200, v169
	v_add_f16_e32 v16, v44, v47
	v_pack_b32_f16 v1, v1, v20
	ds_store_2addr_b32 v169, v11, v10 offset0:85 offset1:102
	ds_store_2addr_b32 v169, v12, v13 offset0:170 offset1:187
	;; [unrolled: 1-line block ×3, first 2 shown]
	v_pack_b32_f16 v4, v26, v61
	v_add_nc_u32_e32 v5, 0x400, v169
	v_pack_b32_f16 v14, v24, v27
	v_pack_b32_f16 v9, v32, v35
	v_pack_b32_f16 v10, v39, v41
	v_pack_b32_f16 v11, v33, v53
	v_fmac_f16_e32 v46, 0x34f2, v16
	v_pack_b32_f16 v2, v2, v8
	v_pack_b32_f16 v8, v34, v62
	v_add_nc_u32_e32 v12, 0x200, v143
	v_fmac_f16_e32 v48, 0x34f2, v16
	v_pack_b32_f16 v13, v28, v31
	ds_store_2addr_b32 v5, v1, v4 offset0:84 offset1:101
	ds_store_2addr_b32 v169, v14, v9 offset0:17 offset1:34
	;; [unrolled: 1-line block ×4, first 2 shown]
	ds_store_b32 v169, v13 offset:204
	v_pack_b32_f16 v1, v42, v40
	v_pack_b32_f16 v2, v29, v50
	;; [unrolled: 1-line block ×4, first 2 shown]
	v_add_nc_u32_e32 v5, 0x200, v142
	v_pack_b32_f16 v7, v21, v17
	v_pack_b32_f16 v8, v43, v46
	;; [unrolled: 1-line block ×5, first 2 shown]
	v_add_nc_u32_e32 v10, 0x200, v127
	ds_store_2addr_b32 v142, v1, v2 offset0:85 offset1:170
	ds_store_2addr_b32 v5, v3, v4 offset0:127 offset1:212
	ds_store_b32 v169, v7 offset:272
	ds_store_2addr_b32 v127, v8, v9 offset0:85 offset1:170
	ds_store_2addr_b32 v10, v0, v6 offset0:127 offset1:212
	global_wb scope:SCOPE_SE
	s_wait_dscnt 0x0
	s_barrier_signal -1
	s_barrier_wait -1
	global_inv scope:SCOPE_SE
	ds_load_2addr_b32 v[0:1], v72 offset1:25
	v_lshrrev_b32_e32 v5, 16, v105
	v_lshrrev_b32_e32 v14, 16, v103
	;; [unrolled: 1-line block ×6, first 2 shown]
	s_wait_dscnt 0x0
	v_lshrrev_b32_e32 v4, 16, v0
	s_delay_alu instid0(VALU_DEP_1) | instskip(NEXT) | instid1(VALU_DEP_1)
	v_mul_f16_e32 v2, v5, v4
	v_fmac_f16_e32 v2, v105, v0
	v_mul_f16_e32 v0, v5, v0
	s_delay_alu instid0(VALU_DEP_2) | instskip(NEXT) | instid1(VALU_DEP_2)
	v_cvt_f32_f16_e32 v2, v2
	v_fma_f16 v0, v105, v4, -v0
	s_delay_alu instid0(VALU_DEP_2) | instskip(NEXT) | instid1(VALU_DEP_2)
	v_cvt_f64_f32_e32 v[2:3], v2
	v_cvt_f32_f16_e32 v0, v0
	s_delay_alu instid0(VALU_DEP_1) | instskip(SKIP_1) | instid1(VALU_DEP_1)
	v_cvt_f64_f32_e32 v[4:5], v0
	v_lshrrev_b32_e32 v0, 16, v1
	v_mul_f16_e32 v6, v14, v0
	s_delay_alu instid0(VALU_DEP_1) | instskip(SKIP_1) | instid1(VALU_DEP_2)
	v_fmac_f16_e32 v6, v103, v1
	v_mul_f16_e32 v1, v14, v1
	v_cvt_f32_f16_e32 v6, v6
	s_delay_alu instid0(VALU_DEP_2) | instskip(NEXT) | instid1(VALU_DEP_1)
	v_fma_f16 v0, v103, v0, -v1
	v_cvt_f32_f16_e32 v0, v0
	s_wait_alu 0xfffe
	v_mul_f64_e32 v[2:3], s[8:9], v[2:3]
	v_mul_f64_e32 v[4:5], s[8:9], v[4:5]
	s_delay_alu instid0(VALU_DEP_2) | instskip(SKIP_2) | instid1(VALU_DEP_3)
	v_and_or_b32 v2, 0x1ff, v3, v2
	v_lshrrev_b32_e32 v7, 8, v3
	v_bfe_u32 v8, v3, 20, 11
	v_cmp_ne_u32_e64 s0, 0, v2
	v_and_or_b32 v4, 0x1ff, v5, v4
	s_delay_alu instid0(VALU_DEP_3)
	v_sub_nc_u32_e32 v9, 0x3f1, v8
	v_lshrrev_b32_e32 v12, 8, v5
	v_bfe_u32 v13, v5, 20, 11
	s_wait_alu 0xf1ff
	v_cndmask_b32_e64 v2, 0, 1, s0
	v_cmp_ne_u32_e64 s0, 0, v4
	v_med3_i32 v9, v9, 0, 13
	v_add_nc_u32_e32 v14, 0xfffffc10, v8
	v_sub_nc_u32_e32 v8, 0x3f1, v13
	v_and_or_b32 v2, 0xffe, v7, v2
	s_wait_alu 0xf1ff
	v_cndmask_b32_e64 v4, 0, 1, s0
	v_cvt_f64_f32_e32 v[6:7], v6
	v_med3_i32 v8, v8, 0, 13
	v_or_b32_e32 v10, 0x1000, v2
	s_delay_alu instid0(VALU_DEP_4) | instskip(SKIP_1) | instid1(VALU_DEP_3)
	v_and_or_b32 v4, 0xffe, v12, v4
	v_lshl_or_b32 v1, v14, 12, v2
	v_lshrrev_b32_e32 v11, v9, v10
	s_delay_alu instid0(VALU_DEP_1) | instskip(NEXT) | instid1(VALU_DEP_1)
	v_lshlrev_b32_e32 v9, v9, v11
	v_cmp_ne_u32_e64 s0, v9, v10
	v_or_b32_e32 v10, 0x1000, v4
	s_wait_alu 0xf1ff
	s_delay_alu instid0(VALU_DEP_2) | instskip(SKIP_1) | instid1(VALU_DEP_3)
	v_cndmask_b32_e64 v9, 0, 1, s0
	v_cmp_gt_i32_e64 s0, 1, v14
	v_lshrrev_b32_e32 v12, v8, v10
	s_delay_alu instid0(VALU_DEP_3) | instskip(NEXT) | instid1(VALU_DEP_2)
	v_or_b32_e32 v9, v11, v9
	v_lshlrev_b32_e32 v16, v8, v12
	s_wait_alu 0xf1ff
	s_delay_alu instid0(VALU_DEP_2)
	v_cndmask_b32_e64 v11, v1, v9, s0
	scratch_load_b64 v[8:9], off, off offset:56 th:TH_LOAD_LU ; 8-byte Folded Reload
	v_cvt_f64_f32_e32 v[0:1], v0
	v_cmp_ne_u32_e64 s2, v16, v10
	v_and_b32_e32 v15, 7, v11
	v_mul_f64_e32 v[6:7], s[8:9], v[6:7]
	v_lshrrev_b32_e32 v11, 2, v11
	s_wait_alu 0xf1ff
	v_cndmask_b32_e64 v10, 0, 1, s2
	v_cmp_lt_i32_e64 s0, 5, v15
	v_cmp_eq_u32_e64 s1, 3, v15
	v_add_nc_u32_e32 v15, 0xfffffc10, v13
	s_delay_alu instid0(VALU_DEP_4) | instskip(NEXT) | instid1(VALU_DEP_3)
	v_or_b32_e32 v12, v12, v10
	s_or_b32 s0, s1, s0
	s_delay_alu instid0(VALU_DEP_2)
	v_lshl_or_b32 v16, v15, 12, v4
	s_wait_alu 0xfffe
	v_add_co_ci_u32_e64 v13, s0, 0, v11, s0
	v_cmp_ne_u32_e64 s0, 0, v2
	ds_load_2addr_b32 v[10:11], v72 offset0:50 offset1:75
	s_wait_alu 0xf1ff
	v_cndmask_b32_e64 v2, 0, 1, s0
	v_cmp_gt_i32_e64 s0, 1, v15
	s_wait_alu 0xf1ff
	s_delay_alu instid0(VALU_DEP_1) | instskip(SKIP_3) | instid1(VALU_DEP_2)
	v_cndmask_b32_e64 v12, v16, v12, s0
	v_cmp_gt_i32_e64 s0, 31, v14
	v_lshl_or_b32 v16, v2, 9, 0x7c00
	s_wait_alu 0xf1ff
	v_cndmask_b32_e64 v13, 0x7c00, v13, s0
	v_cmp_eq_u32_e64 s0, 0x40f, v14
	v_lshrrev_b32_e32 v14, 16, v3
	v_mul_f64_e32 v[0:1], s[8:9], v[0:1]
	s_wait_alu 0xf1ff
	s_delay_alu instid0(VALU_DEP_3) | instskip(SKIP_2) | instid1(VALU_DEP_4)
	v_cndmask_b32_e64 v13, v13, v16, s0
	v_and_or_b32 v6, 0x1ff, v7, v6
	v_bfe_u32 v18, v7, 20, 11
	v_and_or_b32 v0, 0x1ff, v1, v0
	s_wait_loadcnt 0x0
	v_mov_b32_e32 v17, v8
	s_delay_alu instid0(VALU_DEP_1) | instskip(NEXT) | instid1(VALU_DEP_1)
	v_mad_co_u64_u32 v[8:9], null, s6, v17, 0
	v_dual_mov_b32 v2, v9 :: v_dual_and_b32 v9, 7, v12
	s_delay_alu instid0(VALU_DEP_1) | instskip(NEXT) | instid1(VALU_DEP_2)
	v_mad_co_u64_u32 v[2:3], null, s7, v17, v[2:3]
	v_cmp_lt_i32_e64 s0, 5, v9
	v_cmp_eq_u32_e64 s1, 3, v9
	v_lshrrev_b32_e32 v3, 2, v12
	v_and_or_b32 v9, 0x8000, v14, v13
	s_wait_dscnt 0x0
	v_lshrrev_b32_e32 v14, 16, v10
	v_lshrrev_b32_e32 v17, 8, v7
	s_or_b32 s0, s1, s0
	v_lshrrev_b32_e32 v7, 16, v7
	s_wait_alu 0xfffe
	v_add_co_ci_u32_e64 v12, s0, 0, v3, s0
	v_mul_f16_e32 v13, v21, v14
	v_cmp_ne_u32_e64 s0, 0, v4
	v_mad_co_u64_u32 v[3:4], null, s4, v101, 0
	s_delay_alu instid0(VALU_DEP_3) | instskip(SKIP_1) | instid1(VALU_DEP_3)
	v_fmac_f16_e32 v13, v102, v10
	s_wait_alu 0xf1ff
	v_cndmask_b32_e64 v16, 0, 1, s0
	v_cmp_ne_u32_e64 s0, 0, v6
	v_mul_f16_e32 v10, v21, v10
	v_cvt_f32_f16_e32 v13, v13
	s_delay_alu instid0(VALU_DEP_4) | instskip(SKIP_3) | instid1(VALU_DEP_2)
	v_lshl_or_b32 v16, v16, 9, 0x7c00
	s_wait_alu 0xf1ff
	v_cndmask_b32_e64 v6, 0, 1, s0
	v_cmp_gt_i32_e64 s0, 31, v15
	v_and_or_b32 v17, 0xffe, v17, v6
	s_wait_alu 0xf1ff
	s_delay_alu instid0(VALU_DEP_2) | instskip(SKIP_3) | instid1(VALU_DEP_2)
	v_cndmask_b32_e64 v19, 0x7c00, v12, s0
	v_cvt_f64_f32_e32 v[12:13], v13
	v_sub_nc_u32_e32 v6, 0x3f1, v18
	v_cmp_eq_u32_e64 s0, 0x40f, v15
	v_med3_i32 v6, v6, 0, 13
	s_wait_alu 0xf1ff
	s_delay_alu instid0(VALU_DEP_2) | instskip(SKIP_3) | instid1(VALU_DEP_3)
	v_cndmask_b32_e64 v15, v19, v16, s0
	v_or_b32_e32 v16, 0x1000, v17
	v_lshrrev_b32_e32 v19, 16, v5
	v_mad_co_u64_u32 v[4:5], null, s5, v101, v[4:5]
	v_lshrrev_b32_e32 v20, v6, v16
	s_delay_alu instid0(VALU_DEP_3) | instskip(SKIP_2) | instid1(VALU_DEP_4)
	v_and_or_b32 v5, 0x8000, v19, v15
	v_and_b32_e32 v15, 0xffff, v9
	v_mov_b32_e32 v9, v2
	v_lshlrev_b32_e32 v2, v6, v20
	v_fma_f16 v6, v102, v14, -v10
	s_delay_alu instid0(VALU_DEP_4)
	v_lshl_or_b32 v19, v5, 16, v15
	v_add_nc_u32_e32 v10, 0xfffffc10, v18
	v_lshrrev_b32_e32 v14, 8, v1
	v_cmp_ne_u32_e64 s0, v2, v16
	v_cvt_f32_f16_e32 v5, v6
	v_bfe_u32 v16, v1, 20, 11
	v_lshl_or_b32 v18, v10, 12, v17
	v_lshlrev_b64_e32 v[8:9], 2, v[8:9]
	s_wait_alu 0xf1ff
	v_cndmask_b32_e64 v2, 0, 1, s0
	v_cmp_ne_u32_e64 s0, 0, v0
	v_cvt_f64_f32_e32 v[5:6], v5
	v_lshrrev_b32_e32 v1, 16, v1
	s_delay_alu instid0(VALU_DEP_4) | instskip(SKIP_4) | instid1(VALU_DEP_3)
	v_or_b32_e32 v2, v20, v2
	s_wait_alu 0xf1ff
	v_cndmask_b32_e64 v0, 0, 1, s0
	v_cmp_gt_i32_e64 s0, 1, v10
	v_mul_f64_e32 v[12:13], s[8:9], v[12:13]
	v_and_or_b32 v0, 0xffe, v14, v0
	v_lshlrev_b64_e32 v[14:15], 2, v[3:4]
	v_sub_nc_u32_e32 v3, 0x3f1, v16
	s_wait_alu 0xf1ff
	v_cndmask_b32_e64 v4, v18, v2, s0
	v_add_co_u32 v2, s0, s10, v8
	v_or_b32_e32 v18, 0x1000, v0
	v_med3_i32 v20, v3, 0, 13
	s_wait_alu 0xf1ff
	v_add_co_ci_u32_e64 v3, s0, s11, v9, s0
	v_and_b32_e32 v21, 7, v4
	v_add_co_u32 v8, s0, v2, v14
	v_lshrrev_b32_e32 v22, v20, v18
	s_wait_alu 0xf1ff
	v_add_co_ci_u32_e64 v9, s0, v3, v15, s0
	v_cmp_lt_i32_e64 s0, 5, v21
	v_cmp_eq_u32_e64 s1, 3, v21
	v_lshlrev_b32_e32 v14, v20, v22
	v_lshrrev_b32_e32 v20, 16, v11
	v_lshrrev_b32_e32 v4, 2, v4
	v_add_nc_u32_e32 v16, 0xfffffc10, v16
	s_or_b32 s0, s1, s0
	v_cmp_ne_u32_e64 s2, v14, v18
	v_mul_f16_e32 v15, v23, v20
	s_wait_alu 0xfffe
	v_add_co_ci_u32_e64 v18, s0, 0, v4, s0
	v_cmp_ne_u32_e64 s0, 0, v17
	s_wait_alu 0xf1ff
	v_cndmask_b32_e64 v14, 0, 1, s2
	v_fmac_f16_e32 v15, v99, v11
	v_mul_f64_e32 v[4:5], s[8:9], v[5:6]
	v_lshl_or_b32 v21, v16, 12, v0
	v_cndmask_b32_e64 v6, 0, 1, s0
	v_or_b32_e32 v14, v22, v14
	v_cmp_gt_i32_e64 s0, 1, v16
	v_cvt_f32_f16_e32 v15, v15
	global_store_b32 v[8:9], v19, off
	v_and_or_b32 v12, 0x1ff, v13, v12
	v_lshl_or_b32 v6, v6, 9, 0x7c00
	s_wait_alu 0xf1ff
	v_cndmask_b32_e64 v17, v21, v14, s0
	v_cmp_gt_i32_e64 s0, 31, v10
	v_cvt_f64_f32_e32 v[14:15], v15
	v_cmp_ne_u32_e64 s1, 0, v12
	v_lshrrev_b32_e32 v12, 8, v13
	v_and_b32_e32 v21, 7, v17
	s_wait_alu 0xf1ff
	v_cndmask_b32_e64 v18, 0x7c00, v18, s0
	v_cmp_eq_u32_e64 s0, 0x40f, v10
	v_cndmask_b32_e64 v10, 0, 1, s1
	v_cmp_eq_u32_e64 s1, 3, v21
	s_wait_alu 0xf1ff
	s_delay_alu instid0(VALU_DEP_3)
	v_cndmask_b32_e64 v6, v18, v6, s0
	v_cmp_lt_i32_e64 s0, 5, v21
	v_bfe_u32 v18, v13, 20, 11
	v_and_or_b32 v12, 0xffe, v12, v10
	v_mul_f16_e32 v10, v23, v11
	v_and_or_b32 v21, 0x8000, v7, v6
	v_lshrrev_b32_e32 v6, 2, v17
	s_or_b32 s0, s1, s0
	v_sub_nc_u32_e32 v7, 0x3f1, v18
	v_or_b32_e32 v17, 0x1000, v12
	v_fma_f16 v10, v99, v20, -v10
	s_wait_alu 0xfffe
	v_add_co_ci_u32_e64 v6, s0, 0, v6, s0
	v_cmp_ne_u32_e64 s0, 0, v0
	v_med3_i32 v7, v7, 0, 13
	v_cvt_f32_f16_e32 v10, v10
	v_lshrrev_b32_e32 v13, 16, v13
	v_and_or_b32 v4, 0x1ff, v5, v4
	s_wait_alu 0xf1ff
	v_cndmask_b32_e64 v0, 0, 1, s0
	v_cmp_gt_i32_e64 s0, 31, v16
	v_lshrrev_b32_e32 v22, v7, v17
	v_cvt_f64_f32_e32 v[10:11], v10
	v_lshrrev_b32_e32 v20, 8, v5
	v_lshl_or_b32 v0, v0, 9, 0x7c00
	s_wait_alu 0xf1ff
	v_cndmask_b32_e64 v6, 0x7c00, v6, s0
	v_cmp_eq_u32_e64 s0, 0x40f, v16
	v_lshlrev_b32_e32 v16, v7, v22
	v_bfe_u32 v23, v5, 20, 11
	s_wait_alu 0xf1ff
	s_delay_alu instid0(VALU_DEP_3)
	v_cndmask_b32_e64 v0, v6, v0, s0
	v_cmp_ne_u32_e64 s0, 0, v4
	v_mul_f64_e32 v[6:7], s[8:9], v[14:15]
	ds_load_2addr_b32 v[14:15], v72 offset0:100 offset1:125
	v_and_or_b32 v0, 0x8000, v1, v0
	s_wait_alu 0xf1ff
	v_cndmask_b32_e64 v4, 0, 1, s0
	v_cmp_ne_u32_e64 s0, v16, v17
	v_add_nc_u32_e32 v17, 0xfffffc10, v18
	v_sub_nc_u32_e32 v18, 0x3f1, v23
	v_and_b32_e32 v1, 0xffff, v21
	v_and_or_b32 v4, 0xffe, v20, v4
	s_wait_alu 0xf1ff
	v_cndmask_b32_e64 v16, 0, 1, s0
	v_lshl_or_b32 v20, v17, 12, v12
	v_cmp_gt_i32_e64 s0, 1, v17
	v_med3_i32 v18, v18, 0, 13
	v_lshl_or_b32 v21, v0, 16, v1
	v_or_b32_e32 v16, v22, v16
	v_or_b32_e32 v22, 0x1000, v4
	s_wait_alu 0xf1ff
	s_delay_alu instid0(VALU_DEP_2) | instskip(NEXT) | instid1(VALU_DEP_2)
	v_cndmask_b32_e64 v16, v20, v16, s0
	v_lshrrev_b32_e32 v19, v18, v22
	s_mul_u64 s[0:1], s[4:5], 25
	s_wait_alu 0xfffe
	s_lshl_b64 s[6:7], s[0:1], 2
	v_and_b32_e32 v20, 7, v16
	v_lshlrev_b32_e32 v0, v18, v19
	v_lshrrev_b32_e32 v1, 2, v16
	s_wait_dscnt 0x0
	v_lshrrev_b32_e32 v18, 16, v14
	v_add_nc_u32_e32 v16, 0xfffffc10, v23
	v_cmp_lt_i32_e64 s0, 5, v20
	v_cmp_eq_u32_e64 s1, 3, v20
	v_cmp_ne_u32_e64 s2, v0, v22
	v_mul_f16_e32 v20, v25, v18
	v_lshl_or_b32 v23, v16, 12, v4
	s_delay_alu instid0(VALU_DEP_4) | instskip(NEXT) | instid1(VALU_DEP_3)
	s_or_b32 s0, s1, s0
	v_cndmask_b32_e64 v0, 0, 1, s2
	s_wait_alu 0xfffe
	v_add_co_ci_u32_e64 v22, s0, 0, v1, s0
	v_cmp_ne_u32_e64 s0, 0, v12
	v_and_or_b32 v6, 0x1ff, v7, v6
	v_or_b32_e32 v19, v19, v0
	v_mul_f64_e32 v[0:1], s[8:9], v[10:11]
	v_fmac_f16_e32 v20, v97, v14
	s_wait_alu 0xf1ff
	v_cndmask_b32_e64 v12, 0, 1, s0
	v_cmp_gt_i32_e64 s0, 1, v16
	v_cmp_eq_u32_e64 s2, 0x40f, v17
	v_mul_f16_e32 v14, v25, v14
	v_cvt_f32_f16_e32 v10, v20
	v_lshrrev_b32_e32 v20, 8, v7
	s_wait_alu 0xf1ff
	v_cndmask_b32_e64 v19, v23, v19, s0
	v_cmp_ne_u32_e64 s0, 0, v6
	v_bfe_u32 v23, v7, 20, 11
	v_cvt_f64_f32_e32 v[10:11], v10
	v_lshl_or_b32 v12, v12, 9, 0x7c00
	v_and_b32_e32 v24, 7, v19
	s_wait_alu 0xf1ff
	v_cndmask_b32_e64 v6, 0, 1, s0
	v_cmp_gt_i32_e64 s0, 31, v17
	v_lshrrev_b32_e32 v17, 2, v19
	v_fma_f16 v14, v97, v18, -v14
	v_cmp_eq_u32_e64 s1, 3, v24
	v_and_or_b32 v6, 0xffe, v20, v6
	v_sub_nc_u32_e32 v20, 0x3f1, v23
	s_wait_alu 0xf1ff
	v_cndmask_b32_e64 v22, 0x7c00, v22, s0
	v_cmp_lt_i32_e64 s0, 5, v24
	v_lshrrev_b32_e32 v25, 16, v91
	v_or_b32_e32 v24, 0x1000, v6
	v_med3_i32 v20, v20, 0, 13
	v_cndmask_b32_e64 v12, v22, v12, s2
	s_or_b32 s0, s1, s0
	s_wait_alu 0xfffe
	v_add_co_ci_u32_e64 v17, s0, 0, v17, s0
	v_lshrrev_b32_e32 v19, v20, v24
	v_cmp_ne_u32_e64 s0, 0, v4
	v_and_or_b32 v12, 0x8000, v13, v12
	s_delay_alu instid0(VALU_DEP_3) | instskip(SKIP_1) | instid1(VALU_DEP_3)
	v_lshlrev_b32_e32 v20, v20, v19
	s_wait_alu 0xf1ff
	v_cndmask_b32_e64 v4, 0, 1, s0
	v_cmp_gt_i32_e64 s0, 31, v16
	v_and_or_b32 v0, 0x1ff, v1, v0
	v_bfe_u32 v18, v1, 20, 11
	v_and_b32_e32 v12, 0xffff, v12
	v_lshl_or_b32 v4, v4, 9, 0x7c00
	s_wait_alu 0xf1ff
	v_cndmask_b32_e64 v13, 0x7c00, v17, s0
	v_cmp_ne_u32_e64 s0, v20, v24
	v_add_nc_u32_e32 v20, 0xfffffc10, v23
	v_lshrrev_b32_e32 v24, 16, v95
	s_wait_alu 0xf1ff
	s_delay_alu instid0(VALU_DEP_3) | instskip(SKIP_4) | instid1(VALU_DEP_3)
	v_cndmask_b32_e64 v17, 0, 1, s0
	v_cmp_eq_u32_e64 s0, 0x40f, v16
	v_lshl_or_b32 v16, v20, 12, v6
	v_mul_f64_e32 v[10:11], s[8:9], v[10:11]
	s_wait_alu 0xf1ff
	v_cndmask_b32_e64 v13, v13, v4, s0
	v_cmp_ne_u32_e64 s0, 0, v0
	v_or_b32_e32 v4, v19, v17
	v_lshrrev_b32_e32 v17, 8, v1
	v_lshrrev_b32_e32 v1, 16, v1
	s_wait_alu 0xf1ff
	v_cndmask_b32_e64 v0, 0, 1, s0
	v_cmp_gt_i32_e64 s0, 1, v20
	s_delay_alu instid0(VALU_DEP_2) | instskip(SKIP_1) | instid1(VALU_DEP_2)
	v_and_or_b32 v0, 0xffe, v17, v0
	s_wait_alu 0xf1ff
	v_cndmask_b32_e64 v16, v16, v4, s0
	v_cvt_f32_f16_e32 v4, v14
	v_sub_nc_u32_e32 v14, 0x3f1, v18
	v_lshrrev_b32_e32 v17, 16, v5
	v_or_b32_e32 v22, 0x1000, v0
	v_and_b32_e32 v19, 7, v16
	v_add_co_u32 v8, s0, v8, s6
	v_med3_i32 v14, v14, 0, 13
	v_cvt_f64_f32_e32 v[4:5], v4
	v_and_or_b32 v13, 0x8000, v17, v13
	s_wait_alu 0xf1ff
	v_add_co_ci_u32_e64 v9, s0, s7, v9, s0
	v_lshrrev_b32_e32 v17, v14, v22
	v_cmp_lt_i32_e64 s0, 5, v19
	v_cmp_eq_u32_e64 s1, 3, v19
	v_lshrrev_b32_e32 v16, 2, v16
	v_lshl_or_b32 v19, v13, 16, v12
	v_lshlrev_b32_e32 v14, v14, v17
	global_store_b32 v[8:9], v21, off
	s_or_b32 s0, s1, s0
	s_wait_alu 0xfffe
	v_add_co_ci_u32_e64 v12, s0, 0, v16, s0
	v_cmp_ne_u32_e64 s0, v14, v22
	v_add_nc_u32_e32 v14, 0xfffffc10, v18
	v_lshrrev_b32_e32 v16, 16, v15
	v_and_or_b32 v10, 0x1ff, v11, v10
	v_bfe_u32 v22, v11, 20, 11
	s_wait_alu 0xf1ff
	v_cndmask_b32_e64 v13, 0, 1, s0
	v_cmp_gt_i32_e64 s0, 31, v20
	s_delay_alu instid0(VALU_DEP_3) | instskip(SKIP_1) | instid1(VALU_DEP_2)
	v_sub_nc_u32_e32 v23, 0x3f1, v22
	s_wait_alu 0xf1ff
	v_cndmask_b32_e64 v18, 0x7c00, v12, s0
	v_cmp_ne_u32_e64 s0, 0, v6
	v_or_b32_e32 v12, v17, v13
	v_lshl_or_b32 v13, v14, 12, v0
	v_mul_f16_e32 v17, v24, v16
	s_wait_alu 0xf1ff
	v_cndmask_b32_e64 v6, 0, 1, s0
	v_cmp_gt_i32_e64 s0, 1, v14
	s_delay_alu instid0(VALU_DEP_3) | instskip(SKIP_1) | instid1(VALU_DEP_4)
	v_fmac_f16_e32 v17, v95, v15
	v_mul_f16_e32 v15, v24, v15
	v_lshl_or_b32 v6, v6, 9, 0x7c00
	s_wait_alu 0xf1ff
	v_cndmask_b32_e64 v21, v13, v12, s0
	v_cmp_ne_u32_e64 s0, 0, v10
	v_lshrrev_b32_e32 v12, 8, v11
	v_cvt_f32_f16_e32 v13, v17
	v_mul_f64_e32 v[4:5], s[8:9], v[4:5]
	v_and_b32_e32 v17, 7, v21
	s_wait_alu 0xf1ff
	v_cndmask_b32_e64 v10, 0, 1, s0
	v_cmp_eq_u32_e64 s0, 0x40f, v20
	v_fma_f16 v15, v95, v16, -v15
	v_lshrrev_b32_e32 v24, 16, v93
	v_cmp_eq_u32_e64 s1, 3, v17
	v_and_or_b32 v10, 0xffe, v12, v10
	v_cvt_f64_f32_e32 v[12:13], v13
	s_wait_alu 0xf1ff
	v_cndmask_b32_e64 v18, v18, v6, s0
	v_cmp_lt_i32_e64 s0, 5, v17
	v_lshrrev_b32_e32 v17, 16, v7
	v_lshrrev_b32_e32 v7, 2, v21
	v_or_b32_e32 v20, 0x1000, v10
	v_med3_i32 v6, v23, 0, 13
	s_or_b32 s0, s1, s0
	v_cvt_f32_f16_e32 v15, v15
	s_wait_alu 0xfffe
	v_add_co_ci_u32_e64 v7, s0, 0, v7, s0
	v_lshrrev_b32_e32 v21, v6, v20
	v_cmp_ne_u32_e64 s0, 0, v0
	v_lshrrev_b32_e32 v11, 16, v11
	s_delay_alu instid0(VALU_DEP_3) | instskip(SKIP_1) | instid1(VALU_DEP_3)
	v_lshlrev_b32_e32 v16, v6, v21
	s_wait_alu 0xf1ff
	v_cndmask_b32_e64 v0, 0, 1, s0
	v_cmp_gt_i32_e64 s0, 31, v14
	s_delay_alu instid0(VALU_DEP_2) | instskip(SKIP_1) | instid1(VALU_DEP_2)
	v_lshl_or_b32 v0, v0, 9, 0x7c00
	s_wait_alu 0xf1ff
	v_cndmask_b32_e64 v23, 0x7c00, v7, s0
	v_cmp_ne_u32_e64 s0, v16, v20
	v_cvt_f64_f32_e32 v[6:7], v15
	v_add_nc_u32_e32 v16, 0xfffffc10, v22
	s_wait_alu 0xf1ff
	s_delay_alu instid0(VALU_DEP_3)
	v_cndmask_b32_e64 v15, 0, 1, s0
	v_cmp_eq_u32_e64 s0, 0x40f, v14
	v_and_or_b32 v14, 0x8000, v17, v18
	v_lshl_or_b32 v17, v16, 12, v10
	v_and_or_b32 v4, 0x1ff, v5, v4
	v_or_b32_e32 v15, v21, v15
	s_wait_alu 0xf1ff
	v_cndmask_b32_e64 v0, v23, v0, s0
	v_cmp_gt_i32_e64 s0, 1, v16
	v_and_b32_e32 v14, 0xffff, v14
	v_bfe_u32 v20, v5, 20, 11
	s_delay_alu instid0(VALU_DEP_4)
	v_and_or_b32 v18, 0x8000, v1, v0
	v_mul_f64_e32 v[0:1], s[8:9], v[12:13]
	s_wait_alu 0xf1ff
	v_cndmask_b32_e64 v17, v17, v15, s0
	v_cmp_ne_u32_e64 s0, 0, v4
	v_lshrrev_b32_e32 v12, 8, v5
	v_lshl_or_b32 v18, v18, 16, v14
	v_sub_nc_u32_e32 v14, 0x3f1, v20
	v_and_b32_e32 v15, 7, v17
	s_wait_alu 0xf1ff
	v_cndmask_b32_e64 v4, 0, 1, s0
	v_add_co_u32 v8, s0, v8, s6
	s_wait_alu 0xf1ff
	v_add_co_ci_u32_e64 v9, s0, s7, v9, s0
	s_delay_alu instid0(VALU_DEP_3)
	v_and_or_b32 v4, 0xffe, v12, v4
	ds_load_2addr_b32 v[12:13], v72 offset0:150 offset1:175
	v_cmp_lt_i32_e64 s0, 5, v15
	v_cmp_eq_u32_e64 s1, 3, v15
	v_lshrrev_b32_e32 v17, 2, v17
	v_or_b32_e32 v21, 0x1000, v4
	v_med3_i32 v22, v14, 0, 13
	v_add_co_u32 v14, s2, v8, s6
	s_or_b32 s0, s1, s0
	v_mul_f64_e32 v[6:7], s[8:9], v[6:7]
	s_wait_alu 0xfffe
	v_add_co_ci_u32_e64 v17, s0, 0, v17, s0
	v_lshrrev_b32_e32 v23, v22, v21
	v_cmp_gt_i32_e64 s0, 31, v16
	v_add_co_ci_u32_e64 v15, s2, s7, v9, s2
	s_clause 0x1
	global_store_b32 v[8:9], v19, off
	global_store_b32 v[14:15], v18, off
	v_lshlrev_b32_e32 v8, v22, v23
	s_wait_alu 0xf1ff
	v_cndmask_b32_e64 v17, 0x7c00, v17, s0
	s_wait_dscnt 0x0
	v_lshrrev_b32_e32 v18, 16, v12
	v_cmp_ne_u32_e64 s0, 0, v10
	v_add_nc_u32_e32 v19, 0xfffffc10, v20
	v_lshrrev_b32_e32 v5, 16, v5
	v_and_or_b32 v0, 0x1ff, v1, v0
	v_mul_f16_e32 v10, v24, v18
	s_wait_alu 0xf1ff
	v_cndmask_b32_e64 v9, 0, 1, s0
	v_cmp_ne_u32_e64 s0, v8, v21
	v_lshrrev_b32_e32 v21, 8, v1
	v_bfe_u32 v22, v1, 20, 11
	v_fmac_f16_e32 v10, v93, v12
	v_lshl_or_b32 v20, v9, 9, 0x7c00
	s_wait_alu 0xf1ff
	v_cndmask_b32_e64 v8, 0, 1, s0
	v_cmp_ne_u32_e64 s0, 0, v0
	v_lshl_or_b32 v9, v19, 12, v4
	v_cvt_f32_f16_e32 v10, v10
	v_mul_f16_e32 v12, v24, v12
	v_or_b32_e32 v8, v23, v8
	s_wait_alu 0xf1ff
	v_cndmask_b32_e64 v0, 0, 1, s0
	v_cmp_gt_i32_e64 s0, 1, v19
	v_lshrrev_b32_e32 v1, 16, v1
	v_fma_f16 v12, v93, v18, -v12
	v_add_nc_u32_e32 v18, 0xfffffc10, v22
	v_and_or_b32 v0, 0xffe, v21, v0
	s_wait_alu 0xf1ff
	v_cndmask_b32_e64 v23, v9, v8, s0
	v_cvt_f64_f32_e32 v[8:9], v10
	v_sub_nc_u32_e32 v10, 0x3f1, v22
	v_cmp_eq_u32_e64 s0, 0x40f, v16
	v_and_or_b32 v6, 0x1ff, v7, v6
	v_bfe_u32 v21, v7, 20, 11
	v_cvt_f32_f16_e32 v12, v12
	v_med3_i32 v10, v10, 0, 13
	s_wait_alu 0xf1ff
	v_cndmask_b32_e64 v16, v17, v20, s0
	v_or_b32_e32 v20, 0x1000, v0
	v_and_b32_e32 v17, 7, v23
	v_cmp_ne_u32_e64 s2, 0, v6
	v_lshrrev_b32_e32 v23, 2, v23
	v_and_or_b32 v16, 0x8000, v11, v16
	v_lshrrev_b32_e32 v11, v10, v20
	v_cmp_lt_i32_e64 s0, 5, v17
	v_cmp_eq_u32_e64 s1, 3, v17
	s_wait_alu 0xf1ff
	v_cndmask_b32_e64 v6, 0, 1, s2
	v_lshrrev_b32_e32 v17, 8, v7
	v_lshlrev_b32_e32 v10, v10, v11
	v_and_b32_e32 v16, 0xffff, v16
	s_or_b32 s0, s1, s0
	v_lshrrev_b32_e32 v7, 16, v7
	v_and_or_b32 v6, 0xffe, v17, v6
	v_sub_nc_u32_e32 v17, 0x3f1, v21
	v_cmp_ne_u32_e64 s2, v10, v20
	s_wait_alu 0xfffe
	v_add_co_ci_u32_e64 v22, s0, 0, v23, s0
	v_or_b32_e32 v20, 0x1000, v6
	v_med3_i32 v17, v17, 0, 13
	s_wait_alu 0xf1ff
	v_cndmask_b32_e64 v10, 0, 1, s2
	v_cmp_ne_u32_e64 s0, 0, v4
	s_delay_alu instid0(VALU_DEP_3) | instskip(NEXT) | instid1(VALU_DEP_3)
	v_lshrrev_b32_e32 v24, v17, v20
	v_or_b32_e32 v23, v11, v10
	v_cvt_f64_f32_e32 v[10:11], v12
	v_lshl_or_b32 v12, v18, 12, v0
	s_wait_alu 0xf1ff
	v_cndmask_b32_e64 v4, 0, 1, s0
	v_cmp_gt_i32_e64 s0, 1, v18
	v_mul_f64_e32 v[8:9], s[8:9], v[8:9]
	v_lshlrev_b32_e32 v17, v17, v24
	s_delay_alu instid0(VALU_DEP_4) | instskip(SKIP_3) | instid1(VALU_DEP_2)
	v_lshl_or_b32 v4, v4, 9, 0x7c00
	s_wait_alu 0xf1ff
	v_cndmask_b32_e64 v12, v12, v23, s0
	v_cmp_gt_i32_e64 s0, 31, v19
	v_and_b32_e32 v23, 7, v12
	s_wait_alu 0xf1ff
	s_delay_alu instid0(VALU_DEP_2)
	v_cndmask_b32_e64 v22, 0x7c00, v22, s0
	v_cmp_ne_u32_e64 s0, v17, v20
	v_add_nc_u32_e32 v20, 0xfffffc10, v21
	v_lshrrev_b32_e32 v12, 2, v12
	v_cmp_eq_u32_e64 s1, 3, v23
	s_wait_alu 0xf1ff
	v_cndmask_b32_e64 v17, 0, 1, s0
	v_cmp_eq_u32_e64 s0, 0x40f, v19
	v_lshl_or_b32 v19, v20, 12, v6
	v_cmp_gt_i32_e64 s2, 1, v20
	s_delay_alu instid0(VALU_DEP_4)
	v_or_b32_e32 v17, v24, v17
	s_wait_alu 0xf1ff
	v_cndmask_b32_e64 v4, v22, v4, s0
	v_cmp_lt_i32_e64 s0, 5, v23
	v_lshrrev_b32_e32 v22, 16, v13
	v_cndmask_b32_e64 v17, v19, v17, s2
	s_delay_alu instid0(VALU_DEP_4) | instskip(NEXT) | instid1(VALU_DEP_4)
	v_and_or_b32 v19, 0x8000, v5, v4
	s_or_b32 s0, s1, s0
	s_wait_alu 0xfffe
	v_add_co_ci_u32_e64 v12, s0, 0, v12, s0
	v_cmp_gt_i32_e64 s0, 31, v18
	v_and_b32_e32 v21, 7, v17
	v_mul_f64_e32 v[4:5], s[8:9], v[10:11]
	v_lshrrev_b32_e32 v10, 2, v17
	v_mul_f16_e32 v11, v25, v22
	s_wait_alu 0xf1ff
	v_cndmask_b32_e64 v12, 0x7c00, v12, s0
	v_cmp_ne_u32_e64 s0, 0, v0
	v_cmp_eq_u32_e64 s1, 3, v21
	v_and_or_b32 v8, 0x1ff, v9, v8
	v_fmac_f16_e32 v11, v91, v13
	v_mul_f16_e32 v13, v25, v13
	s_wait_alu 0xf1ff
	v_cndmask_b32_e64 v0, 0, 1, s0
	v_cmp_lt_i32_e64 s0, 5, v21
	v_bfe_u32 v21, v9, 20, 11
	v_cvt_f32_f16_e32 v11, v11
	s_delay_alu instid0(VALU_DEP_4) | instskip(NEXT) | instid1(VALU_DEP_4)
	v_lshl_or_b32 v0, v0, 9, 0x7c00
	s_or_b32 s0, s1, s0
	s_delay_alu instid0(VALU_DEP_3)
	v_sub_nc_u32_e32 v23, 0x3f1, v21
	s_wait_alu 0xfffe
	v_add_co_ci_u32_e64 v17, s0, 0, v10, s0
	v_cmp_ne_u32_e64 s0, 0, v8
	v_lshrrev_b32_e32 v10, 8, v9
	v_med3_i32 v23, v23, 0, 13
	s_wait_alu 0xf1ff
	s_delay_alu instid0(VALU_DEP_3) | instskip(SKIP_1) | instid1(VALU_DEP_2)
	v_cndmask_b32_e64 v8, 0, 1, s0
	v_cmp_ne_u32_e64 s0, 0, v6
	v_and_or_b32 v8, 0xffe, v10, v8
	s_wait_alu 0xf1ff
	s_delay_alu instid0(VALU_DEP_2) | instskip(SKIP_3) | instid1(VALU_DEP_4)
	v_cndmask_b32_e64 v6, 0, 1, s0
	v_cmp_gt_i32_e64 s0, 31, v20
	v_cvt_f64_f32_e32 v[10:11], v11
	v_or_b32_e32 v24, 0x1000, v8
	v_lshl_or_b32 v6, v6, 9, 0x7c00
	s_wait_alu 0xf1ff
	v_cndmask_b32_e64 v17, 0x7c00, v17, s0
	v_cmp_eq_u32_e64 s0, 0x40f, v18
	v_lshl_or_b32 v18, v19, 16, v16
	s_wait_alu 0xf1ff
	s_delay_alu instid0(VALU_DEP_2) | instskip(SKIP_3) | instid1(VALU_DEP_3)
	v_cndmask_b32_e64 v0, v12, v0, s0
	v_lshrrev_b32_e32 v12, v23, v24
	v_cmp_eq_u32_e64 s0, 0x40f, v20
	v_add_nc_u32_e32 v20, 0xfffffc10, v21
	v_lshlrev_b32_e32 v16, v23, v12
	s_wait_alu 0xf1ff
	s_delay_alu instid0(VALU_DEP_3)
	v_cndmask_b32_e64 v6, v17, v6, s0
	v_and_or_b32 v17, 0x8000, v1, v0
	v_and_or_b32 v1, 0x1ff, v5, v4
	v_fma_f16 v0, v91, v22, -v13
	v_cmp_ne_u32_e64 s0, v16, v24
	v_bfe_u32 v16, v5, 20, 11
	v_and_or_b32 v19, 0x8000, v7, v6
	v_and_b32_e32 v17, 0xffff, v17
	v_lshrrev_b32_e32 v7, 8, v5
	s_wait_alu 0xf1ff
	v_cndmask_b32_e64 v4, 0, 1, s0
	v_cmp_ne_u32_e64 s0, 0, v1
	v_sub_nc_u32_e32 v13, 0x3f1, v16
	v_lshl_or_b32 v19, v19, 16, v17
	v_cvt_f32_f16_e32 v0, v0
	v_or_b32_e32 v4, v12, v4
	s_wait_alu 0xf1ff
	v_cndmask_b32_e64 v6, 0, 1, s0
	v_lshl_or_b32 v12, v20, 12, v8
	v_cmp_gt_i32_e64 s0, 1, v20
	v_med3_i32 v23, v13, 0, 13
	v_cvt_f64_f32_e32 v[0:1], v0
	v_and_or_b32 v21, 0xffe, v7, v6
	ds_load_2addr_b32 v[6:7], v72 offset0:200 offset1:225
	s_wait_alu 0xf1ff
	v_cndmask_b32_e64 v4, v12, v4, s0
	v_add_co_u32 v12, s0, v14, s6
	s_wait_alu 0xf1ff
	v_add_co_ci_u32_e64 v13, s0, s7, v15, s0
	v_mul_f64_e32 v[10:11], s[8:9], v[10:11]
	s_delay_alu instid0(VALU_DEP_3) | instskip(SKIP_1) | instid1(VALU_DEP_3)
	v_add_co_u32 v14, s0, v12, s6
	s_wait_alu 0xf1ff
	v_add_co_ci_u32_e64 v15, s0, s7, v13, s0
	global_store_b32 v[12:13], v18, off
	global_store_b32 v[14:15], v19, off
	s_clause 0x1
	scratch_load_b32 v28, off, off offset:52 th:TH_LOAD_LU
	scratch_load_b32 v29, off, off offset:48 th:TH_LOAD_LU
	v_or_b32_e32 v22, 0x1000, v21
	v_and_b32_e32 v17, 7, v4
	v_lshrrev_b32_e32 v4, 2, v4
	v_lshrrev_b32_e32 v5, 16, v5
	s_wait_dscnt 0x0
	v_lshrrev_b32_e32 v25, 16, v6
	v_lshrrev_b32_e32 v24, v23, v22
	v_cmp_lt_i32_e64 s0, 5, v17
	v_cmp_eq_u32_e64 s1, 3, v17
	v_lshrrev_b32_e32 v19, 16, v7
	scratch_load_b32 v27, off, off offset:44 th:TH_LOAD_LU ; 4-byte Folded Reload
	v_lshlrev_b32_e32 v23, v23, v24
	s_or_b32 s0, s1, s0
	s_wait_alu 0xfffe
	v_add_co_ci_u32_e64 v4, s0, 0, v4, s0
	s_delay_alu instid0(VALU_DEP_2)
	v_cmp_ne_u32_e64 s2, v23, v22
	v_add_nc_u32_e32 v22, 0xfffffc10, v16
	v_mul_f16_e32 v16, v26, v25
	v_cmp_ne_u32_e64 s0, 0, v8
	v_mul_f64_e32 v[0:1], s[8:9], v[0:1]
	s_wait_alu 0xf1ff
	v_cndmask_b32_e64 v17, 0, 1, s2
	v_lshl_or_b32 v23, v22, 12, v21
	v_fmac_f16_e32 v16, v89, v6
	v_cndmask_b32_e64 v8, 0, 1, s0
	v_cmp_gt_i32_e64 s0, 1, v22
	v_or_b32_e32 v17, v24, v17
	v_mul_f16_e32 v6, v26, v6
	v_cvt_f32_f16_e32 v16, v16
	v_and_or_b32 v10, 0x1ff, v11, v10
	v_lshl_or_b32 v8, v8, 9, 0x7c00
	s_wait_alu 0xf1ff
	v_cndmask_b32_e64 v23, v23, v17, s0
	v_cmp_gt_i32_e64 s0, 31, v20
	v_cvt_f64_f32_e32 v[16:17], v16
	v_cmp_ne_u32_e64 s1, 0, v10
	v_lshrrev_b32_e32 v10, 8, v11
	v_and_b32_e32 v24, 7, v23
	s_wait_alu 0xf1ff
	v_cndmask_b32_e64 v4, 0x7c00, v4, s0
	v_cmp_eq_u32_e64 s0, 0x40f, v20
	v_bfe_u32 v20, v11, 20, 11
	v_fma_f16 v6, v89, v25, -v6
	s_wait_alu 0xf1ff
	s_delay_alu instid0(VALU_DEP_3)
	v_cndmask_b32_e64 v4, v4, v8, s0
	v_lshrrev_b32_e32 v8, 16, v9
	v_cmp_lt_i32_e64 s0, 5, v24
	v_cndmask_b32_e64 v9, 0, 1, s1
	v_cmp_eq_u32_e64 s1, 3, v24
	v_cvt_f32_f16_e32 v6, v6
	v_and_or_b32 v4, 0x8000, v8, v4
	v_lshrrev_b32_e32 v8, 2, v23
	v_and_or_b32 v10, 0xffe, v10, v9
	s_or_b32 s0, s1, s0
	v_sub_nc_u32_e32 v9, 0x3f1, v20
	v_add_nc_u32_e32 v20, 0xfffffc10, v20
	s_wait_alu 0xfffe
	v_add_co_ci_u32_e64 v8, s0, 0, v8, s0
	v_cmp_ne_u32_e64 s0, 0, v21
	v_or_b32_e32 v23, 0x1000, v10
	v_med3_i32 v9, v9, 0, 13
	v_and_or_b32 v0, 0x1ff, v1, v0
	v_lshrrev_b32_e32 v25, 8, v1
	s_wait_alu 0xf1ff
	v_cndmask_b32_e64 v21, 0, 1, s0
	v_cmp_gt_i32_e64 s0, 31, v22
	v_lshrrev_b32_e32 v24, v9, v23
	v_bfe_u32 v26, v1, 20, 11
	v_and_b32_e32 v4, 0xffff, v4
	v_lshl_or_b32 v21, v21, 9, 0x7c00
	s_wait_alu 0xf1ff
	v_cndmask_b32_e64 v8, 0x7c00, v8, s0
	v_cmp_eq_u32_e64 s0, 0x40f, v22
	v_lshlrev_b32_e32 v22, v9, v24
	v_lshrrev_b32_e32 v1, 16, v1
	s_wait_alu 0xf1ff
	s_delay_alu instid0(VALU_DEP_3) | instskip(SKIP_3) | instid1(VALU_DEP_4)
	v_cndmask_b32_e64 v21, v8, v21, s0
	v_cmp_ne_u32_e64 s0, 0, v0
	v_mul_f64_e32 v[8:9], s[8:9], v[16:17]
	v_cvt_f64_f32_e32 v[16:17], v6
	v_and_or_b32 v5, 0x8000, v5, v21
	s_wait_alu 0xf1ff
	v_cndmask_b32_e64 v0, 0, 1, s0
	v_cmp_ne_u32_e64 s0, v22, v23
	v_sub_nc_u32_e32 v22, 0x3f1, v26
	v_lshl_or_b32 v23, v20, 12, v10
	v_lshl_or_b32 v18, v5, 16, v4
	v_and_or_b32 v0, 0xffe, v25, v0
	s_wait_alu 0xf1ff
	v_cndmask_b32_e64 v6, 0, 1, s0
	v_cmp_gt_i32_e64 s0, 1, v20
	v_med3_i32 v22, v22, 0, 13
	s_delay_alu instid0(VALU_DEP_3) | instskip(SKIP_2) | instid1(VALU_DEP_2)
	v_or_b32_e32 v6, v24, v6
	v_or_b32_e32 v24, 0x1000, v0
	s_wait_alu 0xf1ff
	v_cndmask_b32_e64 v21, v23, v6, s0
	s_delay_alu instid0(VALU_DEP_2)
	v_lshrrev_b32_e32 v23, v22, v24
	v_add_co_u32 v5, s0, v14, s6
	s_wait_alu 0xf1ff
	v_add_co_ci_u32_e64 v6, s0, s7, v15, s0
	v_and_b32_e32 v4, 7, v21
	v_lshlrev_b32_e32 v12, v22, v23
	global_store_b32 v[5:6], v18, off
	v_cmp_lt_i32_e64 s0, 5, v4
	v_cmp_eq_u32_e64 s1, 3, v4
	v_lshrrev_b32_e32 v4, 2, v21
	v_cmp_ne_u32_e64 s2, v12, v24
	v_add_nc_u32_e32 v21, 0xfffffc10, v26
	v_lshrrev_b32_e32 v24, 16, v87
	s_or_b32 s0, s1, s0
	v_and_or_b32 v8, 0x1ff, v9, v8
	s_wait_alu 0xfffe
	v_add_co_ci_u32_e64 v4, s0, 0, v4, s0
	v_cndmask_b32_e64 v12, 0, 1, s2
	v_cmp_ne_u32_e64 s0, 0, v10
	v_mul_f16_e32 v14, v24, v19
	v_lshl_or_b32 v22, v21, 12, v0
	s_delay_alu instid0(VALU_DEP_4)
	v_or_b32_e32 v15, v23, v12
	v_mul_f64_e32 v[12:13], s[8:9], v[16:17]
	s_wait_alu 0xf1ff
	v_cndmask_b32_e64 v10, 0, 1, s0
	v_cmp_gt_i32_e64 s0, 1, v21
	v_fmac_f16_e32 v14, v87, v7
	v_lshrrev_b32_e32 v17, 8, v9
	v_mul_f16_e32 v7, v24, v7
	v_lshl_or_b32 v10, v10, 9, 0x7c00
	s_wait_alu 0xf1ff
	v_cndmask_b32_e64 v16, v22, v15, s0
	v_cmp_ne_u32_e64 s0, 0, v8
	v_cvt_f32_f16_e32 v14, v14
	v_bfe_u32 v22, v9, 20, 11
	v_fma_f16 v7, v87, v19, -v7
	v_and_b32_e32 v23, 7, v16
	s_wait_alu 0xf1ff
	v_cndmask_b32_e64 v8, 0, 1, s0
	v_cmp_gt_i32_e64 s0, 31, v20
	v_cvt_f64_f32_e32 v[14:15], v14
	v_cvt_f32_f16_e32 v7, v7
	v_cmp_eq_u32_e64 s1, 3, v23
	v_and_or_b32 v17, 0xffe, v17, v8
	s_wait_alu 0xf1ff
	v_cndmask_b32_e64 v4, 0x7c00, v4, s0
	v_cmp_eq_u32_e64 s0, 0x40f, v20
	v_sub_nc_u32_e32 v8, 0x3f1, v22
	v_lshrrev_b32_e32 v9, 16, v9
	s_wait_alu 0xf1ff
	s_delay_alu instid0(VALU_DEP_3)
	v_cndmask_b32_e64 v20, v4, v10, s0
	v_cmp_lt_i32_e64 s0, 5, v23
	v_lshrrev_b32_e32 v10, 2, v16
	v_or_b32_e32 v4, 0x1000, v17
	v_med3_i32 v8, v8, 0, 13
	v_lshrrev_b32_e32 v23, 16, v11
	s_or_b32 s0, s1, s0
	s_wait_alu 0xfffe
	v_add_co_ci_u32_e64 v10, s0, 0, v10, s0
	v_lshrrev_b32_e32 v11, v8, v4
	v_cmp_ne_u32_e64 s0, 0, v0
	v_and_or_b32 v20, 0x8000, v23, v20
	v_bfe_u32 v24, v13, 20, 11
	s_delay_alu instid0(VALU_DEP_4) | instskip(SKIP_4) | instid1(VALU_DEP_3)
	v_lshlrev_b32_e32 v8, v8, v11
	s_wait_alu 0xf1ff
	v_cndmask_b32_e64 v0, 0, 1, s0
	v_cmp_gt_i32_e64 s0, 31, v21
	v_and_b32_e32 v20, 0xffff, v20
	v_lshl_or_b32 v0, v0, 9, 0x7c00
	s_wait_alu 0xf1ff
	s_delay_alu instid0(VALU_DEP_3)
	v_cndmask_b32_e64 v16, 0x7c00, v10, s0
	v_and_or_b32 v10, 0x1ff, v13, v12
	v_cmp_ne_u32_e64 s0, v8, v4
	v_add_nc_u32_e32 v12, 0xfffffc10, v22
	v_lshrrev_b32_e32 v22, 8, v13
	v_cvt_f64_f32_e32 v[7:8], v7
	v_lshrrev_b32_e32 v13, 16, v13
	s_wait_alu 0xf1ff
	v_cndmask_b32_e64 v4, 0, 1, s0
	v_cmp_ne_u32_e64 s0, 0, v10
	s_delay_alu instid0(VALU_DEP_2) | instskip(SKIP_1) | instid1(VALU_DEP_2)
	v_or_b32_e32 v25, v11, v4
	s_wait_alu 0xf1ff
	v_cndmask_b32_e64 v19, 0, 1, s0
	v_mul_f64_e32 v[10:11], s[8:9], v[14:15]
	v_lshl_or_b32 v14, v12, 12, v17
	v_sub_nc_u32_e32 v15, 0x3f1, v24
	v_cmp_gt_i32_e64 s0, 1, v12
	v_and_or_b32 v19, 0xffe, v22, v19
	v_add_nc_u32_e32 v4, 0x200, v72
	s_delay_alu instid0(VALU_DEP_4)
	v_med3_i32 v26, v15, 0, 13
	s_wait_alu 0xf1ff
	v_cndmask_b32_e64 v22, v14, v25, s0
	v_or_b32_e32 v25, 0x1000, v19
	v_cmp_eq_u32_e64 s0, 0x40f, v21
	ds_load_2addr_b32 v[14:15], v4 offset0:122 offset1:147
	v_and_b32_e32 v21, 7, v22
	s_wait_alu 0xf1ff
	v_cndmask_b32_e64 v0, v16, v0, s0
	v_lshrrev_b32_e32 v16, v26, v25
	s_delay_alu instid0(VALU_DEP_3) | instskip(SKIP_1) | instid1(VALU_DEP_4)
	v_cmp_lt_i32_e64 s0, 5, v21
	v_cmp_eq_u32_e64 s1, 3, v21
	v_and_or_b32 v18, 0x8000, v1, v0
	s_delay_alu instid0(VALU_DEP_4)
	v_lshlrev_b32_e32 v0, v26, v16
	v_lshrrev_b32_e32 v1, 2, v22
	v_add_nc_u32_e32 v21, 0xfffffc10, v24
	s_or_b32 s0, s1, s0
	v_lshl_or_b32 v18, v18, 16, v20
	v_cmp_ne_u32_e64 s2, v0, v25
	s_wait_alu 0xfffe
	v_add_co_ci_u32_e64 v22, s0, 0, v1, s0
	v_cmp_ne_u32_e64 s0, 0, v17
	v_lshl_or_b32 v24, v21, 12, v19
	s_wait_alu 0xf1ff
	v_cndmask_b32_e64 v0, 0, 1, s2
	v_cmp_eq_u32_e64 s2, 0x40f, v12
	s_wait_dscnt 0x0
	v_lshrrev_b32_e32 v23, 16, v14
	v_cndmask_b32_e64 v17, 0, 1, s0
	v_cmp_gt_i32_e64 s0, 1, v21
	v_or_b32_e32 v16, v16, v0
	v_mul_f64_e32 v[0:1], s[8:9], v[7:8]
	v_and_or_b32 v8, 0x1ff, v11, v10
	v_lshl_or_b32 v17, v17, 9, 0x7c00
	v_lshrrev_b32_e32 v25, 8, v11
	s_wait_alu 0xf1ff
	v_cndmask_b32_e64 v16, v24, v16, s0
	v_cmp_gt_i32_e64 s0, 31, v12
	v_bfe_u32 v26, v11, 20, 11
	v_lshrrev_b32_e32 v11, 16, v11
	s_delay_alu instid0(VALU_DEP_4) | instskip(SKIP_4) | instid1(VALU_DEP_3)
	v_lshrrev_b32_e32 v12, 2, v16
	s_wait_alu 0xf1ff
	v_cndmask_b32_e64 v10, 0x7c00, v22, s0
	v_cmp_ne_u32_e64 s0, 0, v8
	v_and_b32_e32 v22, 7, v16
	v_cndmask_b32_e64 v10, v10, v17, s2
	s_wait_alu 0xf1ff
	s_delay_alu instid0(VALU_DEP_3) | instskip(NEXT) | instid1(VALU_DEP_3)
	v_cndmask_b32_e64 v24, 0, 1, s0
	v_cmp_lt_i32_e64 s0, 5, v22
	v_cmp_eq_u32_e64 s1, 3, v22
	v_and_or_b32 v20, 0x8000, v9, v10
	s_delay_alu instid0(VALU_DEP_4) | instskip(SKIP_1) | instid1(VALU_DEP_4)
	v_and_or_b32 v22, 0xffe, v25, v24
	v_sub_nc_u32_e32 v24, 0x3f1, v26
	s_or_b32 s0, s1, s0
	s_wait_alu 0xfffe
	v_add_co_ci_u32_e64 v12, s0, 0, v12, s0
	v_or_b32_e32 v16, 0x1000, v22
	v_med3_i32 v17, v24, 0, 13
	v_cmp_ne_u32_e64 s0, 0, v19
	s_delay_alu instid0(VALU_DEP_2) | instskip(SKIP_1) | instid1(VALU_DEP_2)
	v_lshrrev_b32_e32 v24, v17, v16
	s_wait_alu 0xf1ff
	v_cndmask_b32_e64 v19, 0, 1, s0
	v_cmp_gt_i32_e64 s0, 31, v21
	s_delay_alu instid0(VALU_DEP_3) | instskip(NEXT) | instid1(VALU_DEP_3)
	v_lshlrev_b32_e32 v9, v17, v24
	v_lshl_or_b32 v19, v19, 9, 0x7c00
	s_wait_alu 0xf1ff
	s_delay_alu instid0(VALU_DEP_3) | instskip(SKIP_3) | instid1(VALU_DEP_2)
	v_cndmask_b32_e64 v12, 0x7c00, v12, s0
	v_cmp_eq_u32_e64 s0, 0x40f, v21
	v_and_or_b32 v0, 0x1ff, v1, v0
	s_wait_alu 0xf1ff
	v_cndmask_b32_e64 v12, v12, v19, s0
	v_cmp_ne_u32_e64 s0, v9, v16
	v_bfe_u32 v16, v1, 20, 11
	v_add_nc_u32_e32 v19, 0xfffffc10, v26
	s_delay_alu instid0(VALU_DEP_4)
	v_and_or_b32 v12, 0x8000, v13, v12
	s_wait_alu 0xf1ff
	v_cndmask_b32_e64 v9, 0, 1, s0
	v_cmp_ne_u32_e64 s0, 0, v0
	v_lshl_or_b32 v21, v19, 12, v22
	v_and_b32_e32 v13, 0xffff, v20
	s_delay_alu instid0(VALU_DEP_4) | instskip(SKIP_4) | instid1(VALU_DEP_1)
	v_or_b32_e32 v17, v24, v9
	s_wait_alu 0xf1ff
	v_cndmask_b32_e64 v0, 0, 1, s0
	v_cmp_gt_i32_e64 s0, 1, v19
	s_wait_alu 0xf1ff
	v_cndmask_b32_e64 v17, v21, v17, s0
	v_add_co_u32 v5, s0, v5, s6
	s_wait_alu 0xf1ff
	v_add_co_ci_u32_e64 v6, s0, s7, v6, s0
	s_delay_alu instid0(VALU_DEP_3)
	v_and_b32_e32 v24, 7, v17
	v_lshl_or_b32 v21, v12, 16, v13
	v_add_co_u32 v12, s0, v5, s6
	s_wait_alu 0xf1ff
	v_add_co_ci_u32_e64 v13, s0, s7, v6, s0
	v_cmp_lt_i32_e64 s0, 5, v24
	v_cmp_eq_u32_e64 s1, 3, v24
	v_lshrrev_b32_e32 v17, 2, v17
	v_lshrrev_b32_e32 v24, 16, v15
	s_delay_alu instid0(VALU_DEP_3)
	s_or_b32 s0, s1, s0
	s_wait_loadcnt 0x2
	v_mul_f16_e32 v7, v28, v23
	v_mul_f16_e32 v10, v28, v14
	scratch_load_b32 v28, off, off offset:36 th:TH_LOAD_LU ; 4-byte Folded Reload
	s_wait_loadcnt 0x1
	v_fmac_f16_e32 v7, v27, v14
	v_fma_f16 v10, v27, v23, -v10
	v_lshrrev_b32_e32 v14, 8, v1
	s_delay_alu instid0(VALU_DEP_3) | instskip(NEXT) | instid1(VALU_DEP_3)
	v_cvt_f32_f16_e32 v7, v7
	v_cvt_f32_f16_e32 v9, v10
	s_delay_alu instid0(VALU_DEP_3) | instskip(SKIP_1) | instid1(VALU_DEP_4)
	v_and_or_b32 v0, 0xffe, v14, v0
	v_sub_nc_u32_e32 v14, 0x3f1, v16
	v_cvt_f64_f32_e32 v[7:8], v7
	s_delay_alu instid0(VALU_DEP_4) | instskip(NEXT) | instid1(VALU_DEP_4)
	v_cvt_f64_f32_e32 v[9:10], v9
	v_or_b32_e32 v23, 0x1000, v0
	s_delay_alu instid0(VALU_DEP_4) | instskip(NEXT) | instid1(VALU_DEP_1)
	v_med3_i32 v14, v14, 0, 13
	v_lshrrev_b32_e32 v20, v14, v23
	s_delay_alu instid0(VALU_DEP_1) | instskip(NEXT) | instid1(VALU_DEP_1)
	v_lshlrev_b32_e32 v14, v14, v20
	v_cmp_ne_u32_e64 s2, v14, v23
	v_add_nc_u32_e32 v23, 0xfffffc10, v16
	s_wait_alu 0xfffe
	v_add_co_ci_u32_e64 v16, s0, 0, v17, s0
	v_cmp_ne_u32_e64 s0, 0, v22
	s_wait_alu 0xf1ff
	v_cndmask_b32_e64 v14, 0, 1, s2
	v_lshl_or_b32 v17, v23, 12, v0
	s_delay_alu instid0(VALU_DEP_3) | instskip(NEXT) | instid1(VALU_DEP_3)
	v_cndmask_b32_e64 v22, 0, 1, s0
	v_or_b32_e32 v14, v20, v14
	v_cmp_gt_i32_e64 s0, 1, v23
	v_mul_f16_e32 v20, v29, v24
	s_delay_alu instid0(VALU_DEP_4) | instskip(SKIP_1) | instid1(VALU_DEP_3)
	v_lshl_or_b32 v22, v22, 9, 0x7c00
	s_wait_alu 0xf1ff
	v_cndmask_b32_e64 v14, v17, v14, s0
	v_cmp_gt_i32_e64 s0, 31, v19
	v_mul_f64_e32 v[7:8], s[8:9], v[7:8]
	v_mul_f64_e32 v[9:10], s[8:9], v[9:10]
	s_wait_alu 0xf1ff
	s_delay_alu instid0(VALU_DEP_3) | instskip(NEXT) | instid1(VALU_DEP_3)
	v_cndmask_b32_e64 v25, 0x7c00, v16, s0
	v_and_or_b32 v7, 0x1ff, v8, v7
	v_lshrrev_b32_e32 v26, 8, v8
	v_bfe_u32 v27, v8, 20, 11
	s_delay_alu instid0(VALU_DEP_3) | instskip(SKIP_1) | instid1(VALU_DEP_1)
	v_cmp_ne_u32_e64 s0, 0, v7
	s_wait_alu 0xf1ff
	v_cndmask_b32_e64 v7, 0, 1, s0
	v_cmp_eq_u32_e64 s0, 0x40f, v19
	s_delay_alu instid0(VALU_DEP_2) | instskip(SKIP_1) | instid1(VALU_DEP_2)
	v_and_or_b32 v7, 0xffe, v26, v7
	s_wait_alu 0xf1ff
	v_cndmask_b32_e64 v19, v25, v22, s0
	v_sub_nc_u32_e32 v22, 0x3f1, v27
	v_bfe_u32 v26, v10, 20, 11
	s_delay_alu instid0(VALU_DEP_3) | instskip(NEXT) | instid1(VALU_DEP_3)
	v_and_or_b32 v11, 0x8000, v11, v19
	v_med3_i32 v22, v22, 0, 13
	s_delay_alu instid0(VALU_DEP_2) | instskip(SKIP_3) | instid1(VALU_DEP_2)
	v_and_b32_e32 v11, 0xffff, v11
	s_wait_loadcnt 0x0
	v_fmac_f16_e32 v20, v28, v15
	v_mul_f16_e32 v15, v29, v15
	v_cvt_f32_f16_e32 v16, v20
	v_and_b32_e32 v20, 7, v14
	v_lshrrev_b32_e32 v14, 2, v14
	s_delay_alu instid0(VALU_DEP_4) | instskip(NEXT) | instid1(VALU_DEP_4)
	v_fma_f16 v15, v28, v24, -v15
	v_cvt_f64_f32_e32 v[16:17], v16
	s_delay_alu instid0(VALU_DEP_4) | instskip(SKIP_1) | instid1(VALU_DEP_4)
	v_cmp_lt_i32_e64 s0, 5, v20
	v_cmp_eq_u32_e64 s1, 3, v20
	v_cvt_f32_f16_e32 v15, v15
	v_or_b32_e32 v20, 0x1000, v7
	s_delay_alu instid0(VALU_DEP_3)
	s_or_b32 s0, s1, s0
	s_wait_alu 0xfffe
	v_add_co_ci_u32_e64 v14, s0, 0, v14, s0
	v_cmp_ne_u32_e64 s0, 0, v0
	v_lshrrev_b32_e32 v24, v22, v20
	s_wait_alu 0xf1ff
	s_delay_alu instid0(VALU_DEP_2) | instskip(SKIP_1) | instid1(VALU_DEP_3)
	v_cndmask_b32_e64 v0, 0, 1, s0
	v_cmp_gt_i32_e64 s0, 31, v23
	v_lshlrev_b32_e32 v19, v22, v24
	s_delay_alu instid0(VALU_DEP_3) | instskip(SKIP_1) | instid1(VALU_DEP_3)
	v_lshl_or_b32 v0, v0, 9, 0x7c00
	s_wait_alu 0xf1ff
	v_cndmask_b32_e64 v25, 0x7c00, v14, s0
	v_cvt_f64_f32_e32 v[14:15], v15
	v_cmp_eq_u32_e64 s0, 0x40f, v23
	s_wait_alu 0xf1ff
	s_delay_alu instid0(VALU_DEP_1)
	v_cndmask_b32_e64 v22, v25, v0, s0
	v_and_or_b32 v0, 0x1ff, v10, v9
	v_cmp_ne_u32_e64 s0, v19, v20
	v_lshrrev_b32_e32 v9, 16, v1
	v_add_nc_u32_e32 v20, 0xfffffc10, v27
	v_lshrrev_b32_e32 v25, 8, v10
	v_lshrrev_b32_e32 v10, 16, v10
	s_wait_alu 0xf1ff
	v_cndmask_b32_e64 v19, 0, 1, s0
	v_cmp_ne_u32_e64 s0, 0, v0
	v_and_or_b32 v9, 0x8000, v9, v22
	v_lshl_or_b32 v22, v20, 12, v7
	v_mul_f64_e32 v[0:1], s[8:9], v[16:17]
	v_or_b32_e32 v19, v24, v19
	s_wait_alu 0xf1ff
	v_cndmask_b32_e64 v23, 0, 1, s0
	v_cmp_gt_i32_e64 s0, 1, v20
	ds_load_2addr_b32 v[16:17], v45 offset0:44 offset1:69
	global_store_b32 v[5:6], v18, off
	global_store_b32 v[12:13], v21, off
	v_lshl_or_b32 v9, v9, 16, v11
	scratch_load_b32 v27, off, off offset:40 th:TH_LOAD_LU ; 4-byte Folded Reload
	s_wait_alu 0xf1ff
	v_cndmask_b32_e64 v19, v22, v19, s0
	v_add_co_u32 v5, s0, v12, s6
	s_wait_alu 0xf1ff
	v_add_co_ci_u32_e64 v6, s0, s7, v13, s0
	s_delay_alu instid0(VALU_DEP_3)
	v_and_b32_e32 v11, 7, v19
	v_sub_nc_u32_e32 v24, 0x3f1, v26
	v_and_or_b32 v23, 0xffe, v25, v23
	s_clause 0x1
	scratch_load_b32 v30, off, off offset:20 th:TH_LOAD_LU
	scratch_load_b32 v29, off, off offset:16 th:TH_LOAD_LU
	v_cmp_lt_i32_e64 s0, 5, v11
	v_cmp_eq_u32_e64 s1, 3, v11
	v_or_b32_e32 v22, 0x1000, v23
	v_mul_f64_e32 v[11:12], s[8:9], v[14:15]
	v_lshrrev_b32_e32 v15, 2, v19
	v_add_nc_u32_e32 v19, 0xfffffc10, v26
	scratch_load_b32 v26, off, off offset:32 th:TH_LOAD_LU ; 4-byte Folded Reload
	v_med3_i32 v24, v24, 0, 13
	s_wait_dscnt 0x0
	v_lshrrev_b32_e32 v21, 16, v16
	s_or_b32 s0, s1, s0
	global_store_b32 v[5:6], v9, off
	s_wait_alu 0xfffe
	v_add_co_ci_u32_e64 v15, s0, 0, v15, s0
	v_lshrrev_b32_e32 v18, v24, v22
	v_cmp_ne_u32_e64 s0, 0, v7
	s_delay_alu instid0(VALU_DEP_2) | instskip(SKIP_1) | instid1(VALU_DEP_2)
	v_lshlrev_b32_e32 v13, v24, v18
	s_wait_alu 0xf1ff
	v_cndmask_b32_e64 v7, 0, 1, s0
	v_and_or_b32 v0, 0x1ff, v1, v0
	v_cmp_gt_i32_e64 s0, 1, v19
	v_bfe_u32 v24, v1, 20, 11
	v_cmp_ne_u32_e64 s2, v13, v22
	v_lshl_or_b32 v22, v19, 12, v23
	v_lshl_or_b32 v7, v7, 9, 0x7c00
	s_wait_alu 0xf1ff
	s_delay_alu instid0(VALU_DEP_3) | instskip(NEXT) | instid1(VALU_DEP_1)
	v_cndmask_b32_e64 v13, 0, 1, s2
	v_or_b32_e32 v18, v18, v13
	s_delay_alu instid0(VALU_DEP_1)
	v_cndmask_b32_e64 v18, v22, v18, s0
	v_cmp_ne_u32_e64 s0, 0, v0
	v_lshrrev_b32_e32 v22, 8, v1
	v_and_or_b32 v11, 0x1ff, v12, v11
	v_lshrrev_b32_e32 v1, 16, v1
	v_and_b32_e32 v25, 7, v18
	s_wait_alu 0xf1ff
	v_cndmask_b32_e64 v0, 0, 1, s0
	v_cmp_gt_i32_e64 s0, 31, v20
	s_delay_alu instid0(VALU_DEP_3) | instskip(NEXT) | instid1(VALU_DEP_3)
	v_cmp_eq_u32_e64 s1, 3, v25
	v_and_or_b32 v0, 0xffe, v22, v0
	s_wait_alu 0xf1ff
	s_delay_alu instid0(VALU_DEP_3) | instskip(SKIP_3) | instid1(VALU_DEP_3)
	v_cndmask_b32_e64 v15, 0x7c00, v15, s0
	v_sub_nc_u32_e32 v22, 0x3f1, v24
	v_cmp_eq_u32_e64 s0, 0x40f, v20
	v_add_nc_u32_e32 v24, 0xfffffc10, v24
	v_med3_i32 v20, v22, 0, 13
	s_wait_alu 0xf1ff
	s_delay_alu instid0(VALU_DEP_3) | instskip(SKIP_4) | instid1(VALU_DEP_4)
	v_cndmask_b32_e64 v15, v15, v7, s0
	v_or_b32_e32 v7, 0x1000, v0
	v_cmp_lt_i32_e64 s0, 5, v25
	v_lshrrev_b32_e32 v22, 16, v8
	v_lshrrev_b32_e32 v8, 2, v18
	v_lshrrev_b32_e32 v18, v20, v7
	s_delay_alu instid0(VALU_DEP_4) | instskip(NEXT) | instid1(VALU_DEP_3)
	s_or_b32 s0, s1, s0
	v_and_or_b32 v9, 0x8000, v22, v15
	s_wait_alu 0xfffe
	v_add_co_ci_u32_e64 v25, s0, 0, v8, s0
	v_lshlrev_b32_e32 v8, v20, v18
	v_cmp_ne_u32_e64 s0, 0, v11
	v_lshrrev_b32_e32 v20, 8, v12
	s_wait_alu 0xf1ff
	s_delay_alu instid0(VALU_DEP_2) | instskip(SKIP_1) | instid1(VALU_DEP_2)
	v_cndmask_b32_e64 v11, 0, 1, s0
	v_cmp_ne_u32_e64 s0, v8, v7
	v_and_or_b32 v11, 0xffe, v20, v11
	s_wait_loadcnt 0x3
	v_mul_f16_e32 v14, v27, v21
	s_wait_loadcnt 0x0
	s_delay_alu instid0(VALU_DEP_1)
	v_fmac_f16_e32 v14, v26, v16
	v_mul_f16_e32 v16, v27, v16
	scratch_load_b32 v27, off, off offset:28 th:TH_LOAD_LU ; 4-byte Folded Reload
	v_cvt_f32_f16_e32 v13, v14
	v_fma_f16 v16, v26, v21, -v16
	v_bfe_u32 v21, v12, 20, 11
	s_wait_alu 0xf1ff
	v_cndmask_b32_e64 v26, 0, 1, s0
	v_cmp_ne_u32_e64 s0, 0, v23
	v_cvt_f64_f32_e32 v[13:14], v13
	v_cvt_f32_f16_e32 v16, v16
	v_sub_nc_u32_e32 v20, 0x3f1, v21
	v_or_b32_e32 v18, v18, v26
	v_lshl_or_b32 v23, v24, 12, v0
	v_or_b32_e32 v26, 0x1000, v11
	s_delay_alu instid0(VALU_DEP_4)
	v_med3_i32 v20, v20, 0, 13
	v_mul_f64_e32 v[7:8], s[8:9], v[13:14]
	v_cvt_f64_f32_e32 v[13:14], v16
	s_wait_alu 0xf1ff
	v_cndmask_b32_e64 v16, 0, 1, s0
	v_cmp_gt_i32_e64 s0, 31, v19
	s_delay_alu instid0(VALU_DEP_2) | instskip(SKIP_1) | instid1(VALU_DEP_2)
	v_lshl_or_b32 v16, v16, 9, 0x7c00
	s_wait_alu 0xf1ff
	v_cndmask_b32_e64 v25, 0x7c00, v25, s0
	v_cmp_gt_i32_e64 s0, 1, v24
	s_wait_alu 0xf1ff
	s_delay_alu instid0(VALU_DEP_1) | instskip(SKIP_2) | instid1(VALU_DEP_3)
	v_cndmask_b32_e64 v18, v23, v18, s0
	v_lshrrev_b32_e32 v23, v20, v26
	v_cmp_eq_u32_e64 s0, 0x40f, v19
	v_and_b32_e32 v19, 7, v18
	s_delay_alu instid0(VALU_DEP_3) | instskip(SKIP_1) | instid1(VALU_DEP_3)
	v_lshlrev_b32_e32 v20, v20, v23
	s_wait_alu 0xf1ff
	v_cndmask_b32_e64 v16, v25, v16, s0
	s_delay_alu instid0(VALU_DEP_3) | instskip(NEXT) | instid1(VALU_DEP_3)
	v_cmp_lt_i32_e64 s0, 5, v19
	v_cmp_ne_u32_e64 s1, v20, v26
	scratch_load_b32 v26, off, off offset:24 th:TH_LOAD_LU ; 4-byte Folded Reload
	v_and_or_b32 v15, 0x8000, v10, v16
	v_add_nc_u32_e32 v16, 0xfffffc10, v21
	v_lshrrev_b32_e32 v21, 16, v17
	s_wait_alu 0xf1ff
	v_cndmask_b32_e64 v10, 0, 1, s1
	v_cmp_eq_u32_e64 s1, 3, v19
	v_and_b32_e32 v19, 0xffff, v9
	v_lshrrev_b32_e32 v9, 2, v18
	v_lshl_or_b32 v18, v16, 12, v11
	v_or_b32_e32 v10, v23, v10
	s_or_b32 s0, s1, s0
	v_lshl_or_b32 v19, v15, 16, v19
	s_wait_alu 0xfffe
	v_add_co_ci_u32_e64 v20, s0, 0, v9, s0
	v_cmp_ne_u32_e64 s0, 0, v0
	v_and_or_b32 v7, 0x1ff, v8, v7
	v_lshrrev_b32_e32 v22, 8, v8
	v_bfe_u32 v23, v8, 20, 11
	v_lshrrev_b32_e32 v8, 16, v8
	s_wait_alu 0xf1ff
	v_cndmask_b32_e64 v0, 0, 1, s0
	v_cmp_gt_i32_e64 s0, 1, v16
	s_delay_alu instid0(VALU_DEP_2) | instskip(SKIP_1) | instid1(VALU_DEP_2)
	v_lshl_or_b32 v0, v0, 9, 0x7c00
	s_wait_alu 0xf1ff
	v_cndmask_b32_e64 v18, v18, v10, s0
	v_cmp_gt_i32_e64 s0, 31, v24
	v_mul_f64_e32 v[9:10], s[8:9], v[13:14]
	s_wait_alu 0xf1ff
	s_delay_alu instid0(VALU_DEP_2) | instskip(SKIP_4) | instid1(VALU_DEP_3)
	v_cndmask_b32_e64 v13, 0x7c00, v20, s0
	v_cmp_ne_u32_e64 s0, 0, v7
	v_and_b32_e32 v20, 7, v18
	v_lshrrev_b32_e32 v18, 2, v18
	s_wait_alu 0xf1ff
	v_cndmask_b32_e64 v7, 0, 1, s0
	v_cmp_eq_u32_e64 s0, 0x40f, v24
	v_cmp_eq_u32_e64 s1, 3, v20
	s_delay_alu instid0(VALU_DEP_3) | instskip(SKIP_1) | instid1(VALU_DEP_3)
	v_and_or_b32 v7, 0xffe, v22, v7
	s_wait_alu 0xf1ff
	v_cndmask_b32_e64 v0, v13, v0, s0
	v_cmp_lt_i32_e64 s0, 5, v20
	v_sub_nc_u32_e32 v22, 0x3f1, v23
	v_or_b32_e32 v20, 0x1000, v7
	s_delay_alu instid0(VALU_DEP_4) | instskip(NEXT) | instid1(VALU_DEP_4)
	v_and_or_b32 v25, 0x8000, v1, v0
	s_or_b32 s0, s1, s0
	s_delay_alu instid0(VALU_DEP_3) | instskip(SKIP_3) | instid1(VALU_DEP_3)
	v_med3_i32 v22, v22, 0, 13
	s_wait_alu 0xfffe
	v_add_co_ci_u32_e64 v18, s0, 0, v18, s0
	v_cmp_ne_u32_e64 s0, 0, v11
	v_lshrrev_b32_e32 v24, v22, v20
	s_wait_alu 0xf1ff
	s_delay_alu instid0(VALU_DEP_2) | instskip(SKIP_1) | instid1(VALU_DEP_3)
	v_cndmask_b32_e64 v11, 0, 1, s0
	v_cmp_gt_i32_e64 s0, 31, v16
	v_lshlrev_b32_e32 v1, v22, v24
	s_delay_alu instid0(VALU_DEP_3) | instskip(SKIP_1) | instid1(VALU_DEP_3)
	v_lshl_or_b32 v11, v11, 9, 0x7c00
	s_wait_alu 0xf1ff
	v_cndmask_b32_e64 v18, 0x7c00, v18, s0
	v_cmp_eq_u32_e64 s0, 0x40f, v16
	v_and_or_b32 v9, 0x1ff, v10, v9
	s_wait_alu 0xf1ff
	s_delay_alu instid0(VALU_DEP_2) | instskip(SKIP_4) | instid1(VALU_DEP_3)
	v_cndmask_b32_e64 v16, v18, v11, s0
	v_cmp_ne_u32_e64 s0, v1, v20
	v_add_nc_u32_e32 v20, 0xfffffc10, v23
	v_bfe_u32 v18, v10, 20, 11
	s_wait_alu 0xf1ff
	v_cndmask_b32_e64 v11, 0, 1, s0
	v_cmp_ne_u32_e64 s0, 0, v9
	v_lshl_or_b32 v22, v20, 12, v7
	v_sub_nc_u32_e32 v23, 0x3f1, v18
	s_wait_alu 0xf1ff
	s_delay_alu instid0(VALU_DEP_3) | instskip(SKIP_1) | instid1(VALU_DEP_3)
	v_cndmask_b32_e64 v9, 0, 1, s0
	v_cmp_gt_i32_e64 s0, 1, v20
	v_med3_i32 v23, v23, 0, 13
	s_wait_loadcnt 0x1
	v_mul_f16_e32 v14, v27, v21
	v_mul_f16_e32 v0, v27, v17
	s_wait_loadcnt 0x0
	s_delay_alu instid0(VALU_DEP_2) | instskip(NEXT) | instid1(VALU_DEP_2)
	v_fmac_f16_e32 v14, v26, v17
	v_fma_f16 v0, v26, v21, -v0
	v_lshrrev_b32_e32 v17, 16, v12
	v_lshrrev_b32_e32 v12, 8, v10
	v_or_b32_e32 v21, v24, v11
	v_cvt_f32_f16_e32 v13, v14
	v_cvt_f32_f16_e32 v0, v0
	v_and_or_b32 v15, 0x8000, v17, v16
	v_and_or_b32 v9, 0xffe, v12, v9
	ds_load_2addr_b32 v[11:12], v45 offset0:94 offset1:119
	v_cvt_f64_f32_e32 v[13:14], v13
	v_cvt_f64_f32_e32 v[0:1], v0
	s_wait_alu 0xf1ff
	v_cndmask_b32_e64 v21, v22, v21, s0
	v_or_b32_e32 v22, 0x1000, v9
	v_and_b32_e32 v16, 0xffff, v25
	v_add_co_u32 v5, s0, v5, s6
	s_delay_alu instid0(VALU_DEP_4) | instskip(NEXT) | instid1(VALU_DEP_4)
	v_and_b32_e32 v17, 7, v21
	v_lshrrev_b32_e32 v24, v23, v22
	s_delay_alu instid0(VALU_DEP_4)
	v_lshl_or_b32 v25, v15, 16, v16
	s_wait_alu 0xf1ff
	v_add_co_ci_u32_e64 v6, s0, s7, v6, s0
	v_cmp_lt_i32_e64 s0, 5, v17
	v_lshlrev_b32_e32 v15, v23, v24
	v_cmp_eq_u32_e64 s1, 3, v17
	v_lshrrev_b32_e32 v16, 2, v21
	v_add_nc_u32_e32 v21, 0xfffffc10, v18
	s_delay_alu instid0(VALU_DEP_4) | instskip(NEXT) | instid1(VALU_DEP_4)
	v_cmp_ne_u32_e64 s2, v15, v22
	s_or_b32 s0, s1, s0
	s_wait_dscnt 0x0
	v_lshrrev_b32_e32 v23, 16, v11
	s_wait_alu 0xfffe
	v_add_co_ci_u32_e64 v16, s0, 0, v16, s0
	v_cndmask_b32_e64 v15, 0, 1, s2
	v_cmp_ne_u32_e64 s0, 0, v7
	v_mul_f16_e32 v17, v30, v23
	v_lshl_or_b32 v18, v21, 12, v9
	s_delay_alu instid0(VALU_DEP_4) | instskip(SKIP_4) | instid1(VALU_DEP_3)
	v_or_b32_e32 v15, v24, v15
	s_wait_alu 0xf1ff
	v_cndmask_b32_e64 v7, 0, 1, s0
	v_cmp_gt_i32_e64 s0, 1, v21
	v_fmac_f16_e32 v17, v29, v11
	v_lshl_or_b32 v7, v7, 9, 0x7c00
	s_wait_alu 0xf1ff
	s_delay_alu instid0(VALU_DEP_3)
	v_cndmask_b32_e64 v22, v18, v15, s0
	v_cmp_gt_i32_e64 s0, 31, v20
	v_cvt_f32_f16_e32 v15, v17
	v_mul_f64_e32 v[13:14], s[8:9], v[13:14]
	v_mul_f64_e32 v[0:1], s[8:9], v[0:1]
	v_and_b32_e32 v26, 7, v22
	s_wait_alu 0xf1ff
	v_cndmask_b32_e64 v24, 0x7c00, v16, s0
	v_add_co_u32 v17, s0, v5, s6
	s_wait_alu 0xf1ff
	v_add_co_ci_u32_e64 v18, s0, s7, v6, s0
	v_cmp_eq_u32_e64 s0, 0x40f, v20
	v_lshrrev_b32_e32 v22, 2, v22
	global_store_b32 v[5:6], v19, off
	global_store_b32 v[17:18], v25, off
	v_cvt_f64_f32_e32 v[15:16], v15
	s_wait_alu 0xf1ff
	v_cndmask_b32_e64 v7, v24, v7, s0
	v_cmp_lt_i32_e64 s0, 5, v26
	s_delay_alu instid0(VALU_DEP_2)
	v_and_or_b32 v27, 0x8000, v8, v7
	v_and_or_b32 v13, 0x1ff, v14, v13
	v_lshrrev_b32_e32 v20, 8, v14
	v_bfe_u32 v24, v14, 20, 11
	v_and_or_b32 v0, 0x1ff, v1, v0
	v_lshrrev_b32_e32 v14, 16, v14
	v_cmp_ne_u32_e64 s1, 0, v13
	s_wait_alu 0xf1ff
	s_delay_alu instid0(VALU_DEP_1) | instskip(SKIP_2) | instid1(VALU_DEP_3)
	v_cndmask_b32_e64 v13, 0, 1, s1
	v_cmp_eq_u32_e64 s1, 3, v26
	v_mul_f64_e32 v[7:8], s[8:9], v[15:16]
	v_and_or_b32 v13, 0xffe, v20, v13
	s_delay_alu instid0(VALU_DEP_3)
	s_or_b32 s0, s1, s0
	v_sub_nc_u32_e32 v20, 0x3f1, v24
	s_wait_alu 0xfffe
	v_add_co_ci_u32_e64 v22, s0, 0, v22, s0
	v_cmp_ne_u32_e64 s0, 0, v9
	v_or_b32_e32 v26, 0x1000, v13
	v_med3_i32 v20, v20, 0, 13
	s_wait_alu 0xf1ff
	s_delay_alu instid0(VALU_DEP_3) | instskip(SKIP_1) | instid1(VALU_DEP_3)
	v_cndmask_b32_e64 v9, 0, 1, s0
	v_cmp_gt_i32_e64 s0, 31, v21
	v_lshrrev_b32_e32 v28, v20, v26
	s_delay_alu instid0(VALU_DEP_3) | instskip(SKIP_1) | instid1(VALU_DEP_3)
	v_lshl_or_b32 v9, v9, 9, 0x7c00
	s_wait_alu 0xf1ff
	v_cndmask_b32_e64 v22, 0x7c00, v22, s0
	v_cmp_eq_u32_e64 s0, 0x40f, v21
	s_wait_alu 0xf1ff
	s_delay_alu instid0(VALU_DEP_1)
	v_cndmask_b32_e64 v21, v22, v9, s0
	v_lshrrev_b32_e32 v22, 16, v10
	v_lshlrev_b32_e32 v9, v20, v28
	v_cmp_ne_u32_e64 s0, 0, v0
	v_mul_f16_e32 v10, v30, v11
	v_lshrrev_b32_e32 v11, 8, v1
	v_and_or_b32 v21, 0x8000, v22, v21
	v_and_b32_e32 v22, 0xffff, v27
	scratch_load_b32 v27, off, off offset:12 th:TH_LOAD_LU ; 4-byte Folded Reload
	s_wait_alu 0xf1ff
	v_cndmask_b32_e64 v0, 0, 1, s0
	v_cmp_ne_u32_e64 s0, v9, v26
	scratch_load_b32 v26, off, off offset:4 th:TH_LOAD_LU ; 4-byte Folded Reload
	v_bfe_u32 v20, v1, 20, 11
	v_fma_f16 v10, v29, v23, -v10
	v_add_nc_u32_e32 v23, 0xfffffc10, v24
	s_wait_alu 0xf1ff
	v_cndmask_b32_e64 v9, 0, 1, s0
	v_and_or_b32 v0, 0xffe, v11, v0
	v_sub_nc_u32_e32 v11, 0x3f1, v20
	v_lshl_or_b32 v19, v21, 16, v22
	v_lshl_or_b32 v16, v23, 12, v13
	v_or_b32_e32 v15, v28, v9
	v_or_b32_e32 v24, 0x1000, v0
	v_med3_i32 v11, v11, 0, 13
	v_cmp_gt_i32_e64 s0, 1, v23
	v_and_or_b32 v7, 0x1ff, v8, v7
	v_bfe_u32 v22, v8, 20, 11
	v_cmp_eq_u32_e64 s2, 0x40f, v23
	v_cvt_f32_f16_e32 v10, v10
	s_wait_alu 0xf1ff
	v_cndmask_b32_e64 v15, v16, v15, s0
	v_lshrrev_b32_e32 v16, v11, v24
	v_add_co_u32 v5, s0, v17, s6
	s_wait_alu 0xf1ff
	v_add_co_ci_u32_e64 v6, s0, s7, v18, s0
	s_delay_alu instid0(VALU_DEP_3)
	v_lshlrev_b32_e32 v11, v11, v16
	v_and_b32_e32 v21, 7, v15
	v_lshrrev_b32_e32 v15, 2, v15
	v_lshrrev_b32_e32 v17, 16, v12
	v_add_nc_u32_e32 v18, 0xfffffc10, v20
	v_cmp_ne_u32_e64 s1, v11, v24
	v_cmp_lt_i32_e64 s0, 5, v21
	v_cvt_f64_f32_e32 v[9:10], v10
	v_lshrrev_b32_e32 v1, 16, v1
	s_wait_alu 0xf1ff
	v_cndmask_b32_e64 v11, 0, 1, s1
	v_cmp_eq_u32_e64 s1, 3, v21
	s_delay_alu instid0(VALU_DEP_2) | instskip(NEXT) | instid1(VALU_DEP_2)
	v_or_b32_e32 v11, v16, v11
	s_or_b32 s0, s1, s0
	v_lshl_or_b32 v16, v18, 12, v0
	s_wait_alu 0xfffe
	v_add_co_ci_u32_e64 v21, s0, 0, v15, s0
	v_cmp_gt_i32_e64 s0, 1, v18
	s_wait_alu 0xf1ff
	s_delay_alu instid0(VALU_DEP_1) | instskip(SKIP_1) | instid1(VALU_DEP_2)
	v_cndmask_b32_e64 v11, v16, v11, s0
	v_cmp_ne_u32_e64 s0, 0, v7
	v_and_b32_e32 v24, 7, v11
	s_wait_alu 0xf1ff
	s_delay_alu instid0(VALU_DEP_2) | instskip(SKIP_4) | instid1(VALU_DEP_3)
	v_cndmask_b32_e64 v7, 0, 1, s0
	v_cmp_ne_u32_e64 s0, 0, v13
	v_lshrrev_b32_e32 v11, 2, v11
	v_cmp_eq_u32_e64 s1, 3, v24
	s_wait_alu 0xf1ff
	v_cndmask_b32_e64 v13, 0, 1, s0
	v_cmp_gt_i32_e64 s0, 31, v23
	s_delay_alu instid0(VALU_DEP_2) | instskip(SKIP_1) | instid1(VALU_DEP_2)
	v_lshl_or_b32 v13, v13, 9, 0x7c00
	s_wait_alu 0xf1ff
	v_cndmask_b32_e64 v21, 0x7c00, v21, s0
	v_cmp_lt_i32_e64 s0, 5, v24
	v_mul_f64_e32 v[9:10], s[8:9], v[9:10]
	s_delay_alu instid0(VALU_DEP_3) | instskip(NEXT) | instid1(VALU_DEP_3)
	v_cndmask_b32_e64 v13, v21, v13, s2
	s_or_b32 s0, s1, s0
	s_wait_alu 0xfffe
	v_add_co_ci_u32_e64 v11, s0, 0, v11, s0
	v_cmp_ne_u32_e64 s0, 0, v0
	v_and_or_b32 v13, 0x8000, v14, v13
	s_wait_alu 0xf1ff
	s_delay_alu instid0(VALU_DEP_2) | instskip(SKIP_1) | instid1(VALU_DEP_3)
	v_cndmask_b32_e64 v0, 0, 1, s0
	v_cmp_gt_i32_e64 s0, 31, v18
	v_and_b32_e32 v13, 0xffff, v13
	s_delay_alu instid0(VALU_DEP_3) | instskip(SKIP_1) | instid1(VALU_DEP_3)
	v_lshl_or_b32 v0, v0, 9, 0x7c00
	s_wait_alu 0xf1ff
	v_cndmask_b32_e64 v11, 0x7c00, v11, s0
	v_and_or_b32 v9, 0x1ff, v10, v9
	s_wait_loadcnt 0x1
	v_mul_f16_e32 v20, v27, v17
	s_wait_loadcnt 0x0
	s_delay_alu instid0(VALU_DEP_1) | instskip(NEXT) | instid1(VALU_DEP_1)
	v_fmac_f16_e32 v20, v26, v12
	v_cvt_f32_f16_e32 v15, v20
	v_lshrrev_b32_e32 v20, 8, v8
	s_delay_alu instid0(VALU_DEP_2) | instskip(NEXT) | instid1(VALU_DEP_2)
	v_cvt_f64_f32_e32 v[15:16], v15
	v_and_or_b32 v7, 0xffe, v20, v7
	v_sub_nc_u32_e32 v20, 0x3f1, v22
	s_delay_alu instid0(VALU_DEP_2) | instskip(NEXT) | instid1(VALU_DEP_2)
	v_or_b32_e32 v25, 0x1000, v7
	v_med3_i32 v20, v20, 0, 13
	s_delay_alu instid0(VALU_DEP_1) | instskip(NEXT) | instid1(VALU_DEP_1)
	v_lshrrev_b32_e32 v21, v20, v25
	v_lshlrev_b32_e32 v20, v20, v21
	s_delay_alu instid0(VALU_DEP_1)
	v_cmp_ne_u32_e64 s0, v20, v25
	scratch_load_b32 v25, off, off th:TH_LOAD_LU ; 4-byte Folded Reload
	ds_load_b32 v20, v72 offset:1600
	s_wait_alu 0xf1ff
	v_cndmask_b32_e64 v14, 0, 1, s0
	v_cmp_eq_u32_e64 s0, 0x40f, v18
	v_add_nc_u32_e32 v18, 0xfffffc10, v22
	s_delay_alu instid0(VALU_DEP_3)
	v_or_b32_e32 v14, v21, v14
	v_mul_f16_e32 v21, v27, v12
	s_wait_alu 0xf1ff
	v_cndmask_b32_e64 v0, v11, v0, s0
	v_cmp_gt_i32_e64 s0, 1, v18
	v_mul_f64_e32 v[11:12], s[8:9], v[15:16]
	v_fma_f16 v16, v26, v17, -v21
	scratch_load_b32 v26, off, off offset:8 th:TH_LOAD_LU ; 4-byte Folded Reload
	v_lshl_or_b32 v15, v18, 12, v7
	v_bfe_u32 v17, v10, 20, 11
	v_and_or_b32 v21, 0x8000, v1, v0
	s_wait_alu 0xf1ff
	s_delay_alu instid0(VALU_DEP_3)
	v_cndmask_b32_e64 v14, v15, v14, s0
	v_cmp_ne_u32_e64 s0, 0, v9
	v_cvt_f32_f16_e32 v15, v16
	v_lshrrev_b32_e32 v16, 8, v10
	v_lshl_or_b32 v21, v21, 16, v13
	v_and_b32_e32 v22, 7, v14
	s_wait_alu 0xf1ff
	v_cndmask_b32_e64 v9, 0, 1, s0
	v_cvt_f64_f32_e32 v[0:1], v15
	v_sub_nc_u32_e32 v15, 0x3f1, v17
	v_lshrrev_b32_e32 v13, 2, v14
	v_cmp_lt_i32_e64 s0, 5, v22
	v_and_or_b32 v9, 0xffe, v16, v9
	s_wait_dscnt 0x0
	v_lshrrev_b32_e32 v16, 16, v20
	v_cmp_eq_u32_e64 s1, 3, v22
	v_med3_i32 v15, v15, 0, 13
	v_add_nc_u32_e32 v17, 0xfffffc10, v17
	v_or_b32_e32 v23, 0x1000, v9
	s_delay_alu instid0(VALU_DEP_4) | instskip(SKIP_2) | instid1(VALU_DEP_2)
	s_or_b32 s0, s1, s0
	s_wait_alu 0xfffe
	v_add_co_ci_u32_e64 v13, s0, 0, v13, s0
	v_lshrrev_b32_e32 v22, v15, v23
	v_cmp_ne_u32_e64 s0, 0, v7
	s_delay_alu instid0(VALU_DEP_2) | instskip(SKIP_1) | instid1(VALU_DEP_2)
	v_lshlrev_b32_e32 v15, v15, v22
	s_wait_alu 0xf1ff
	v_cndmask_b32_e64 v7, 0, 1, s0
	v_cmp_gt_i32_e64 s0, 31, v18
	v_and_or_b32 v11, 0x1ff, v12, v11
	s_delay_alu instid0(VALU_DEP_3) | instskip(SKIP_1) | instid1(VALU_DEP_1)
	v_lshl_or_b32 v7, v7, 9, 0x7c00
	v_mul_f64_e32 v[0:1], s[8:9], v[0:1]
	v_and_or_b32 v0, 0x1ff, v1, v0
	s_wait_loadcnt 0x0
	v_mul_f16_e32 v24, v26, v16
	s_delay_alu instid0(VALU_DEP_1) | instskip(SKIP_1) | instid1(VALU_DEP_2)
	v_fmac_f16_e32 v24, v25, v20
	v_mul_f16_e32 v20, v26, v20
	v_cvt_f32_f16_e32 v14, v24
	s_wait_alu 0xf1ff
	v_cndmask_b32_e64 v24, 0x7c00, v13, s0
	v_cmp_ne_u32_e64 s0, v15, v23
	v_lshrrev_b32_e32 v23, 8, v12
	v_fma_f16 v16, v25, v16, -v20
	v_cvt_f64_f32_e32 v[13:14], v14
	v_lshl_or_b32 v20, v17, 12, v9
	s_wait_alu 0xf1ff
	v_cndmask_b32_e64 v15, 0, 1, s0
	v_cmp_ne_u32_e64 s0, 0, v11
	v_cvt_f32_f16_e32 v16, v16
	s_delay_alu instid0(VALU_DEP_3) | instskip(SKIP_1) | instid1(VALU_DEP_3)
	v_or_b32_e32 v15, v22, v15
	s_wait_alu 0xf1ff
	v_cndmask_b32_e64 v11, 0, 1, s0
	v_bfe_u32 v22, v12, 20, 11
	v_cmp_gt_i32_e64 s0, 1, v17
	v_lshrrev_b32_e32 v12, 16, v12
	s_delay_alu instid0(VALU_DEP_4) | instskip(NEXT) | instid1(VALU_DEP_4)
	v_and_or_b32 v11, 0xffe, v23, v11
	v_sub_nc_u32_e32 v23, 0x3f1, v22
	s_wait_alu 0xf1ff
	v_cndmask_b32_e64 v20, v20, v15, s0
	v_cmp_eq_u32_e64 s0, 0x40f, v18
	v_cvt_f64_f32_e32 v[15:16], v16
	v_or_b32_e32 v25, 0x1000, v11
	v_med3_i32 v23, v23, 0, 13
	v_and_b32_e32 v26, 7, v20
	s_wait_alu 0xf1ff
	v_cndmask_b32_e64 v18, v24, v7, s0
	v_add_co_u32 v7, s0, v5, s6
	v_lshrrev_b32_e32 v27, v23, v25
	v_lshrrev_b32_e32 v24, 16, v8
	s_wait_alu 0xf1ff
	v_add_co_ci_u32_e64 v8, s0, s7, v6, s0
	v_cmp_lt_i32_e64 s0, 5, v26
	v_cmp_eq_u32_e64 s1, 3, v26
	v_lshrrev_b32_e32 v20, 2, v20
	v_lshlrev_b32_e32 v23, v23, v27
	v_add_nc_u32_e32 v22, 0xfffffc10, v22
	v_and_or_b32 v18, 0x8000, v24, v18
	s_or_b32 s0, s1, s0
	s_wait_alu 0xfffe
	v_add_co_ci_u32_e64 v20, s0, 0, v20, s0
	v_cmp_ne_u32_e64 s2, v23, v25
	v_cmp_ne_u32_e64 s0, 0, v9
	v_mul_f64_e32 v[13:14], s[8:9], v[13:14]
	v_lshl_or_b32 v24, v22, 12, v11
	v_lshrrev_b32_e32 v25, 8, v1
	s_wait_alu 0xf1ff
	v_cndmask_b32_e64 v23, 0, 1, s2
	v_cndmask_b32_e64 v9, 0, 1, s0
	v_cmp_gt_i32_e64 s0, 31, v17
	s_delay_alu instid0(VALU_DEP_3) | instskip(NEXT) | instid1(VALU_DEP_3)
	v_or_b32_e32 v23, v27, v23
	v_lshl_or_b32 v9, v9, 9, 0x7c00
	s_wait_alu 0xf1ff
	s_delay_alu instid0(VALU_DEP_3) | instskip(SKIP_2) | instid1(VALU_DEP_1)
	v_cndmask_b32_e64 v20, 0x7c00, v20, s0
	v_cmp_gt_i32_e64 s0, 1, v22
	s_wait_alu 0xf1ff
	v_cndmask_b32_e64 v23, v24, v23, s0
	v_cmp_eq_u32_e64 s0, 0x40f, v17
	s_delay_alu instid0(VALU_DEP_2) | instskip(SKIP_1) | instid1(VALU_DEP_2)
	v_and_b32_e32 v24, 7, v23
	s_wait_alu 0xf1ff
	v_cndmask_b32_e64 v17, v20, v9, s0
	v_lshrrev_b32_e32 v20, 16, v10
	v_cmp_ne_u32_e64 s0, 0, v0
	v_mul_f64_e32 v[9:10], s[8:9], v[15:16]
	v_bfe_u32 v15, v1, 20, 11
	v_cmp_eq_u32_e64 s1, 3, v24
	v_and_or_b32 v16, 0x8000, v20, v17
	v_and_b32_e32 v17, 0xffff, v18
	s_wait_alu 0xf1ff
	v_cndmask_b32_e64 v0, 0, 1, s0
	v_cmp_lt_i32_e64 s0, 5, v24
	v_sub_nc_u32_e32 v18, 0x3f1, v15
	v_add_nc_u32_e32 v15, 0xfffffc10, v15
	v_lshl_or_b32 v16, v16, 16, v17
	v_lshrrev_b32_e32 v17, 2, v23
	v_and_or_b32 v0, 0xffe, v25, v0
	s_or_b32 s0, s1, s0
	v_med3_i32 v18, v18, 0, 13
	v_and_or_b32 v13, 0x1ff, v14, v13
	s_wait_alu 0xfffe
	v_add_co_ci_u32_e64 v17, s0, 0, v17, s0
	v_or_b32_e32 v20, 0x1000, v0
	v_cmp_ne_u32_e64 s0, 0, v11
	v_lshrrev_b32_e32 v24, 8, v14
	v_bfe_u32 v25, v14, 20, 11
	v_lshrrev_b32_e32 v1, 16, v1
	v_lshrrev_b32_e32 v23, v18, v20
	s_wait_alu 0xf1ff
	v_cndmask_b32_e64 v11, 0, 1, s0
	v_cmp_gt_i32_e64 s0, 31, v22
	v_lshrrev_b32_e32 v14, 16, v14
	v_lshlrev_b32_e32 v18, v18, v23
	s_delay_alu instid0(VALU_DEP_4) | instskip(SKIP_4) | instid1(VALU_DEP_1)
	v_lshl_or_b32 v11, v11, 9, 0x7c00
	s_wait_alu 0xf1ff
	v_cndmask_b32_e64 v17, 0x7c00, v17, s0
	v_cmp_ne_u32_e64 s0, 0, v13
	s_wait_alu 0xf1ff
	v_cndmask_b32_e64 v13, 0, 1, s0
	v_cmp_ne_u32_e64 s0, v18, v20
	v_sub_nc_u32_e32 v20, 0x3f1, v25
	v_and_or_b32 v9, 0x1ff, v10, v9
	s_delay_alu instid0(VALU_DEP_4)
	v_and_or_b32 v13, 0xffe, v24, v13
	s_wait_alu 0xf1ff
	v_cndmask_b32_e64 v18, 0, 1, s0
	v_cmp_eq_u32_e64 s0, 0x40f, v22
	v_med3_i32 v20, v20, 0, 13
	v_bfe_u32 v24, v10, 20, 11
	v_or_b32_e32 v22, 0x1000, v13
	s_wait_alu 0xf1ff
	v_cndmask_b32_e64 v11, v17, v11, s0
	v_or_b32_e32 v17, v23, v18
	v_lshl_or_b32 v18, v15, 12, v0
	v_cmp_gt_i32_e64 s0, 1, v15
	v_lshrrev_b32_e32 v23, 8, v10
	v_and_or_b32 v11, 0x8000, v12, v11
	v_sub_nc_u32_e32 v12, 0x3f1, v24
	s_wait_alu 0xf1ff
	v_cndmask_b32_e64 v17, v18, v17, s0
	v_lshrrev_b32_e32 v18, v20, v22
	v_cmp_ne_u32_e64 s0, 0, v9
	v_med3_i32 v12, v12, 0, 13
	s_delay_alu instid0(VALU_DEP_4) | instskip(NEXT) | instid1(VALU_DEP_4)
	v_and_b32_e32 v26, 7, v17
	v_lshlrev_b32_e32 v20, v20, v18
	s_wait_alu 0xf1ff
	v_cndmask_b32_e64 v9, 0, 1, s0
	v_lshrrev_b32_e32 v17, 2, v17
	v_cmp_lt_i32_e64 s0, 5, v26
	v_cmp_ne_u32_e64 s1, v20, v22
	s_delay_alu instid0(VALU_DEP_4) | instskip(SKIP_2) | instid1(VALU_DEP_3)
	v_and_or_b32 v9, 0xffe, v23, v9
	v_add_nc_u32_e32 v23, 0xfffffc10, v25
	s_wait_alu 0xf1ff
	v_cndmask_b32_e64 v20, 0, 1, s1
	v_cmp_eq_u32_e64 s1, 3, v26
	v_or_b32_e32 v22, 0x1000, v9
	v_lshl_or_b32 v25, v23, 12, v13
	s_delay_alu instid0(VALU_DEP_4) | instskip(NEXT) | instid1(VALU_DEP_4)
	v_or_b32_e32 v18, v18, v20
	s_or_b32 s0, s1, s0
	s_delay_alu instid0(VALU_DEP_3) | instskip(SKIP_3) | instid1(VALU_DEP_3)
	v_lshrrev_b32_e32 v20, v12, v22
	s_wait_alu 0xfffe
	v_add_co_ci_u32_e64 v17, s0, 0, v17, s0
	v_cmp_gt_i32_e64 s0, 1, v23
	v_lshlrev_b32_e32 v12, v12, v20
	s_wait_alu 0xf1ff
	s_delay_alu instid0(VALU_DEP_2) | instskip(SKIP_2) | instid1(VALU_DEP_1)
	v_cndmask_b32_e64 v18, v25, v18, s0
	v_cmp_ne_u32_e64 s0, 0, v0
	s_wait_alu 0xf1ff
	v_cndmask_b32_e64 v0, 0, 1, s0
	v_cmp_ne_u32_e64 s0, v12, v22
	v_add_nc_u32_e32 v22, 0xfffffc10, v24
	v_and_b32_e32 v24, 7, v18
	s_delay_alu instid0(VALU_DEP_4)
	v_lshl_or_b32 v0, v0, 9, 0x7c00
	s_wait_alu 0xf1ff
	v_cndmask_b32_e64 v12, 0, 1, s0
	v_cmp_gt_i32_e64 s0, 31, v15
	v_cmp_gt_i32_e64 s2, 1, v22
	v_cmp_eq_u32_e64 s1, 3, v24
	s_delay_alu instid0(VALU_DEP_4) | instskip(SKIP_4) | instid1(VALU_DEP_3)
	v_or_b32_e32 v12, v20, v12
	v_lshl_or_b32 v20, v22, 12, v9
	s_wait_alu 0xf1ff
	v_cndmask_b32_e64 v17, 0x7c00, v17, s0
	v_cmp_lt_i32_e64 s0, 5, v24
	v_cndmask_b32_e64 v12, v20, v12, s2
	v_cmp_eq_u32_e64 s2, 0x40f, v15
	v_lshrrev_b32_e32 v15, 2, v18
	s_delay_alu instid0(VALU_DEP_4) | instskip(NEXT) | instid1(VALU_DEP_2)
	s_or_b32 s0, s1, s0
	v_cndmask_b32_e64 v0, v17, v0, s2
	s_wait_alu 0xfffe
	s_delay_alu instid0(VALU_DEP_2)
	v_add_co_ci_u32_e64 v15, s0, 0, v15, s0
	v_and_b32_e32 v17, 7, v12
	v_cmp_ne_u32_e64 s0, 0, v13
	v_lshrrev_b32_e32 v12, 2, v12
	v_cmp_gt_i32_e64 s2, 31, v23
	v_and_or_b32 v0, 0x8000, v1, v0
	v_cmp_eq_u32_e64 s1, 3, v17
	s_wait_alu 0xf1ff
	v_cndmask_b32_e64 v13, 0, 1, s0
	v_cmp_lt_i32_e64 s0, 5, v17
	v_cndmask_b32_e64 v15, 0x7c00, v15, s2
	v_and_b32_e32 v1, 0xffff, v11
	s_delay_alu instid0(VALU_DEP_4) | instskip(NEXT) | instid1(VALU_DEP_4)
	v_lshl_or_b32 v13, v13, 9, 0x7c00
	s_or_b32 s0, s1, s0
	s_wait_alu 0xfffe
	v_add_co_ci_u32_e64 v12, s0, 0, v12, s0
	v_cmp_ne_u32_e64 s0, 0, v9
	s_wait_alu 0xf1ff
	s_delay_alu instid0(VALU_DEP_1) | instskip(SKIP_1) | instid1(VALU_DEP_2)
	v_cndmask_b32_e64 v9, 0, 1, s0
	v_cmp_eq_u32_e64 s0, 0x40f, v23
	v_lshl_or_b32 v9, v9, 9, 0x7c00
	s_wait_alu 0xf1ff
	s_delay_alu instid0(VALU_DEP_2) | instskip(SKIP_1) | instid1(VALU_DEP_2)
	v_cndmask_b32_e64 v13, v15, v13, s0
	v_cmp_gt_i32_e64 s0, 31, v22
	v_and_or_b32 v11, 0x8000, v14, v13
	s_wait_alu 0xf1ff
	s_delay_alu instid0(VALU_DEP_2)
	v_cndmask_b32_e64 v12, 0x7c00, v12, s0
	v_cmp_eq_u32_e64 s0, 0x40f, v22
	v_lshrrev_b32_e32 v13, 16, v10
	v_lshl_or_b32 v14, v0, 16, v1
	v_and_b32_e32 v1, 0xffff, v11
	s_wait_alu 0xf1ff
	v_cndmask_b32_e64 v12, v12, v9, s0
	v_add_co_u32 v9, s0, v7, s6
	s_wait_alu 0xf1ff
	v_add_co_ci_u32_e64 v10, s0, s7, v8, s0
	s_delay_alu instid0(VALU_DEP_3) | instskip(NEXT) | instid1(VALU_DEP_3)
	v_and_or_b32 v0, 0x8000, v13, v12
	v_add_co_u32 v11, s0, v9, s6
	s_wait_alu 0xf1ff
	s_delay_alu instid0(VALU_DEP_3) | instskip(NEXT) | instid1(VALU_DEP_3)
	v_add_co_ci_u32_e64 v12, s0, s7, v10, s0
	v_lshl_or_b32 v13, v0, 16, v1
	s_delay_alu instid0(VALU_DEP_3) | instskip(SKIP_1) | instid1(VALU_DEP_3)
	v_add_co_u32 v0, s0, v11, s6
	s_wait_alu 0xf1ff
	v_add_co_ci_u32_e64 v1, s0, s7, v12, s0
	global_store_b32 v[5:6], v19, off
	global_store_b32 v[7:8], v21, off
	;; [unrolled: 1-line block ×5, first 2 shown]
	s_and_b32 exec_lo, exec_lo, vcc_lo
	s_cbranch_execz .LBB0_15
; %bb.14:
	global_load_b32 v5, v[36:37], off offset:68
	ds_load_b32 v6, v169 offset:68
	v_mad_co_u64_u32 v[0:1], null, 0xfffffa04, s4, v[0:1]
	scratch_load_b32 v21, off, off offset:68 th:TH_LOAD_LU ; 4-byte Folded Reload
	s_mul_i32 s3, s5, 0xc8
	s_wait_dscnt 0x0
	v_lshrrev_b32_e32 v7, 16, v6
	s_wait_loadcnt 0x1
	v_lshrrev_b32_e32 v8, 16, v5
	s_delay_alu instid0(VALU_DEP_1) | instskip(SKIP_1) | instid1(VALU_DEP_2)
	v_mul_f16_e32 v9, v7, v8
	v_mul_f16_e32 v8, v6, v8
	v_fmac_f16_e32 v9, v6, v5
	s_delay_alu instid0(VALU_DEP_2) | instskip(NEXT) | instid1(VALU_DEP_2)
	v_fma_f16 v5, v5, v7, -v8
	v_cvt_f32_f16_e32 v6, v9
	s_delay_alu instid0(VALU_DEP_2) | instskip(NEXT) | instid1(VALU_DEP_2)
	v_cvt_f32_f16_e32 v7, v5
	v_cvt_f64_f32_e32 v[5:6], v6
	s_delay_alu instid0(VALU_DEP_2) | instskip(NEXT) | instid1(VALU_DEP_2)
	v_cvt_f64_f32_e32 v[7:8], v7
	v_mul_f64_e32 v[5:6], s[8:9], v[5:6]
	s_delay_alu instid0(VALU_DEP_2) | instskip(NEXT) | instid1(VALU_DEP_2)
	v_mul_f64_e32 v[7:8], s[8:9], v[7:8]
	v_and_or_b32 v5, 0x1ff, v6, v5
	s_delay_alu instid0(VALU_DEP_2)
	v_and_or_b32 v7, 0x1ff, v8, v7
	v_lshrrev_b32_e32 v9, 8, v6
	v_bfe_u32 v10, v6, 20, 11
	v_lshrrev_b32_e32 v11, 8, v8
	v_cmp_ne_u32_e32 vcc_lo, 0, v5
	v_bfe_u32 v12, v8, 20, 11
	v_lshrrev_b32_e32 v6, 16, v6
	v_sub_nc_u32_e32 v13, 0x3f1, v10
	v_lshrrev_b32_e32 v8, 16, v8
	s_wait_alu 0xfffd
	v_cndmask_b32_e64 v5, 0, 1, vcc_lo
	v_cmp_ne_u32_e32 vcc_lo, 0, v7
	s_delay_alu instid0(VALU_DEP_2) | instskip(SKIP_3) | instid1(VALU_DEP_2)
	v_and_or_b32 v5, 0xffe, v9, v5
	s_wait_alu 0xfffd
	v_cndmask_b32_e64 v7, 0, 1, vcc_lo
	v_sub_nc_u32_e32 v9, 0x3f1, v12
	v_and_or_b32 v7, 0xffe, v11, v7
	v_med3_i32 v11, v13, 0, 13
	v_or_b32_e32 v13, 0x1000, v5
	s_delay_alu instid0(VALU_DEP_4) | instskip(NEXT) | instid1(VALU_DEP_4)
	v_med3_i32 v9, v9, 0, 13
	v_or_b32_e32 v14, 0x1000, v7
	s_delay_alu instid0(VALU_DEP_3) | instskip(NEXT) | instid1(VALU_DEP_2)
	v_lshrrev_b32_e32 v15, v11, v13
	v_lshrrev_b32_e32 v16, v9, v14
	s_delay_alu instid0(VALU_DEP_2) | instskip(NEXT) | instid1(VALU_DEP_2)
	v_lshlrev_b32_e32 v11, v11, v15
	v_lshlrev_b32_e32 v9, v9, v16
	s_delay_alu instid0(VALU_DEP_2) | instskip(SKIP_2) | instid1(VALU_DEP_3)
	v_cmp_ne_u32_e32 vcc_lo, v11, v13
	s_wait_alu 0xfffd
	v_cndmask_b32_e64 v11, 0, 1, vcc_lo
	v_cmp_ne_u32_e32 vcc_lo, v9, v14
	s_delay_alu instid0(VALU_DEP_2) | instskip(SKIP_3) | instid1(VALU_DEP_2)
	v_or_b32_e32 v11, v15, v11
	v_add_nc_u32_e32 v10, 0xfffffc10, v10
	s_wait_alu 0xfffd
	v_cndmask_b32_e64 v9, 0, 1, vcc_lo
	v_lshl_or_b32 v13, v10, 12, v5
	s_delay_alu instid0(VALU_DEP_2) | instskip(SKIP_2) | instid1(VALU_DEP_2)
	v_or_b32_e32 v9, v16, v9
	v_add_nc_u32_e32 v12, 0xfffffc10, v12
	v_cmp_gt_i32_e32 vcc_lo, 1, v10
	v_lshl_or_b32 v14, v12, 12, v7
	s_wait_alu 0xfffd
	v_cndmask_b32_e32 v11, v13, v11, vcc_lo
	v_cmp_gt_i32_e32 vcc_lo, 1, v12
	s_delay_alu instid0(VALU_DEP_2)
	v_and_b32_e32 v13, 7, v11
	s_wait_alu 0xfffd
	v_cndmask_b32_e32 v9, v14, v9, vcc_lo
	v_cmp_ne_u32_e32 vcc_lo, 0, v5
	v_lshrrev_b32_e32 v11, 2, v11
	v_cmp_eq_u32_e64 s0, 3, v13
	s_wait_alu 0xfffd
	v_cndmask_b32_e64 v5, 0, 1, vcc_lo
	v_cmp_ne_u32_e32 vcc_lo, 0, v7
	s_delay_alu instid0(VALU_DEP_2) | instskip(SKIP_3) | instid1(VALU_DEP_2)
	v_lshl_or_b32 v5, v5, 9, 0x7c00
	s_wait_alu 0xfffd
	v_cndmask_b32_e64 v7, 0, 1, vcc_lo
	v_cmp_lt_i32_e32 vcc_lo, 5, v13
	v_lshl_or_b32 v7, v7, 9, 0x7c00
	s_or_b32 vcc_lo, s0, vcc_lo
	s_mul_i32 s0, s5, 0xfffffa04
	s_wait_alu 0xfffe
	v_add_co_ci_u32_e32 v11, vcc_lo, 0, v11, vcc_lo
	v_and_b32_e32 v14, 7, v9
	v_lshrrev_b32_e32 v9, 2, v9
	s_sub_co_i32 s0, s0, s4
	s_wait_alu 0xfffe
	v_add_nc_u32_e32 v1, s0, v1
	v_cmp_lt_i32_e64 s1, 5, v14
	v_cmp_eq_u32_e64 s2, 3, v14
	s_delay_alu instid0(VALU_DEP_1)
	s_or_b32 vcc_lo, s2, s1
	s_wait_alu 0xfffe
	v_add_co_ci_u32_e32 v9, vcc_lo, 0, v9, vcc_lo
	v_cmp_gt_i32_e32 vcc_lo, 31, v10
	s_wait_alu 0xfffd
	v_cndmask_b32_e32 v11, 0x7c00, v11, vcc_lo
	v_cmp_gt_i32_e32 vcc_lo, 31, v12
	s_wait_alu 0xfffd
	v_cndmask_b32_e32 v9, 0x7c00, v9, vcc_lo
	v_cmp_eq_u32_e32 vcc_lo, 0x40f, v10
	s_wait_alu 0xfffd
	v_cndmask_b32_e32 v5, v11, v5, vcc_lo
	v_cmp_eq_u32_e32 vcc_lo, 0x40f, v12
	s_delay_alu instid0(VALU_DEP_2) | instskip(SKIP_2) | instid1(VALU_DEP_2)
	v_and_or_b32 v5, 0x8000, v6, v5
	s_wait_alu 0xfffd
	v_cndmask_b32_e32 v7, v9, v7, vcc_lo
	v_and_b32_e32 v5, 0xffff, v5
	s_delay_alu instid0(VALU_DEP_2) | instskip(NEXT) | instid1(VALU_DEP_1)
	v_and_or_b32 v6, 0x8000, v8, v7
	v_lshl_or_b32 v5, v6, 16, v5
	global_store_b32 v[0:1], v5, off
	global_load_b32 v7, v[36:37], off offset:168
	ds_load_2addr_b32 v[5:6], v72 offset0:42 offset1:67
	s_wait_dscnt 0x0
	v_lshrrev_b32_e32 v8, 16, v5
	s_wait_loadcnt 0x0
	v_lshrrev_b32_e32 v9, 16, v7
	s_delay_alu instid0(VALU_DEP_1) | instskip(SKIP_1) | instid1(VALU_DEP_2)
	v_mul_f16_e32 v10, v8, v9
	v_mul_f16_e32 v9, v5, v9
	v_fmac_f16_e32 v10, v5, v7
	s_delay_alu instid0(VALU_DEP_2) | instskip(NEXT) | instid1(VALU_DEP_2)
	v_fma_f16 v5, v7, v8, -v9
	v_cvt_f32_f16_e32 v7, v10
	s_delay_alu instid0(VALU_DEP_2) | instskip(NEXT) | instid1(VALU_DEP_2)
	v_cvt_f32_f16_e32 v5, v5
	v_cvt_f64_f32_e32 v[7:8], v7
	s_delay_alu instid0(VALU_DEP_2) | instskip(NEXT) | instid1(VALU_DEP_2)
	v_cvt_f64_f32_e32 v[9:10], v5
	v_mul_f64_e32 v[7:8], s[8:9], v[7:8]
	s_delay_alu instid0(VALU_DEP_2) | instskip(NEXT) | instid1(VALU_DEP_2)
	v_mul_f64_e32 v[9:10], s[8:9], v[9:10]
	v_and_or_b32 v5, 0x1ff, v8, v7
	s_delay_alu instid0(VALU_DEP_2)
	v_and_or_b32 v9, 0x1ff, v10, v9
	v_lshrrev_b32_e32 v7, 8, v8
	v_bfe_u32 v11, v8, 20, 11
	v_lshrrev_b32_e32 v12, 8, v10
	v_cmp_ne_u32_e32 vcc_lo, 0, v5
	v_bfe_u32 v13, v10, 20, 11
	v_lshrrev_b32_e32 v8, 16, v8
	v_sub_nc_u32_e32 v14, 0x3f1, v11
	v_add_nc_u32_e32 v11, 0xfffffc10, v11
	s_wait_alu 0xfffd
	v_cndmask_b32_e64 v5, 0, 1, vcc_lo
	v_cmp_ne_u32_e32 vcc_lo, 0, v9
	v_lshrrev_b32_e32 v10, 16, v10
	s_delay_alu instid0(VALU_DEP_3) | instskip(SKIP_4) | instid1(VALU_DEP_3)
	v_and_or_b32 v5, 0xffe, v7, v5
	s_wait_alu 0xfffd
	v_cndmask_b32_e64 v9, 0, 1, vcc_lo
	v_sub_nc_u32_e32 v7, 0x3f1, v13
	v_add_nc_u32_e32 v13, 0xfffffc10, v13
	v_and_or_b32 v9, 0xffe, v12, v9
	v_med3_i32 v12, v14, 0, 13
	v_or_b32_e32 v14, 0x1000, v5
	v_med3_i32 v7, v7, 0, 13
	s_delay_alu instid0(VALU_DEP_4) | instskip(NEXT) | instid1(VALU_DEP_3)
	v_or_b32_e32 v15, 0x1000, v9
	v_lshrrev_b32_e32 v16, v12, v14
	s_delay_alu instid0(VALU_DEP_2) | instskip(NEXT) | instid1(VALU_DEP_2)
	v_lshrrev_b32_e32 v17, v7, v15
	v_lshlrev_b32_e32 v12, v12, v16
	s_delay_alu instid0(VALU_DEP_2) | instskip(NEXT) | instid1(VALU_DEP_2)
	v_lshlrev_b32_e32 v7, v7, v17
	v_cmp_ne_u32_e32 vcc_lo, v12, v14
	v_lshl_or_b32 v14, v11, 12, v5
	s_wait_alu 0xfffd
	v_cndmask_b32_e64 v12, 0, 1, vcc_lo
	v_cmp_ne_u32_e32 vcc_lo, v7, v15
	v_lshl_or_b32 v15, v13, 12, v9
	s_delay_alu instid0(VALU_DEP_3) | instskip(SKIP_3) | instid1(VALU_DEP_2)
	v_or_b32_e32 v12, v16, v12
	s_wait_alu 0xfffd
	v_cndmask_b32_e64 v7, 0, 1, vcc_lo
	v_cmp_gt_i32_e32 vcc_lo, 1, v11
	v_or_b32_e32 v7, v17, v7
	s_wait_alu 0xfffd
	v_cndmask_b32_e32 v12, v14, v12, vcc_lo
	v_cmp_gt_i32_e32 vcc_lo, 1, v13
	s_wait_alu 0xfffd
	s_delay_alu instid0(VALU_DEP_2) | instskip(SKIP_2) | instid1(VALU_DEP_3)
	v_dual_cndmask_b32 v7, v15, v7 :: v_dual_and_b32 v14, 7, v12
	v_cmp_ne_u32_e32 vcc_lo, 0, v5
	v_lshrrev_b32_e32 v12, 2, v12
	v_cmp_eq_u32_e64 s0, 3, v14
	s_delay_alu instid0(VALU_DEP_4)
	v_and_b32_e32 v15, 7, v7
	s_wait_alu 0xfffd
	v_cndmask_b32_e64 v5, 0, 1, vcc_lo
	v_cmp_ne_u32_e32 vcc_lo, 0, v9
	v_lshrrev_b32_e32 v7, 2, v7
	v_cmp_lt_i32_e64 s1, 5, v15
	v_cmp_eq_u32_e64 s2, 3, v15
	s_wait_alu 0xfffd
	v_cndmask_b32_e64 v9, 0, 1, vcc_lo
	v_cmp_lt_i32_e32 vcc_lo, 5, v14
	v_lshl_or_b32 v5, v5, 9, 0x7c00
	s_delay_alu instid0(VALU_DEP_3)
	v_lshl_or_b32 v9, v9, 9, 0x7c00
	s_or_b32 vcc_lo, s0, vcc_lo
	s_wait_alu 0xfffe
	v_add_co_ci_u32_e32 v12, vcc_lo, 0, v12, vcc_lo
	s_or_b32 vcc_lo, s2, s1
	s_wait_alu 0xfffe
	v_add_co_ci_u32_e32 v7, vcc_lo, 0, v7, vcc_lo
	v_cmp_gt_i32_e32 vcc_lo, 31, v11
	s_wait_alu 0xfffd
	v_cndmask_b32_e32 v12, 0x7c00, v12, vcc_lo
	v_cmp_gt_i32_e32 vcc_lo, 31, v13
	s_wait_alu 0xfffd
	v_cndmask_b32_e32 v7, 0x7c00, v7, vcc_lo
	v_cmp_eq_u32_e32 vcc_lo, 0x40f, v11
	s_wait_alu 0xfffd
	v_cndmask_b32_e32 v5, v12, v5, vcc_lo
	v_cmp_eq_u32_e32 vcc_lo, 0x40f, v13
	s_delay_alu instid0(VALU_DEP_2)
	v_and_or_b32 v5, 0x8000, v8, v5
	s_wait_alu 0xfffd
	v_cndmask_b32_e32 v7, v7, v9, vcc_lo
	v_add_co_u32 v0, vcc_lo, v0, s6
	s_wait_alu 0xfffd
	v_add_co_ci_u32_e32 v1, vcc_lo, s7, v1, vcc_lo
	s_delay_alu instid0(VALU_DEP_3) | instskip(SKIP_1) | instid1(VALU_DEP_1)
	v_and_or_b32 v7, 0x8000, v10, v7
	v_and_b32_e32 v5, 0xffff, v5
	v_lshl_or_b32 v5, v7, 16, v5
	v_lshrrev_b32_e32 v7, 16, v6
	global_store_b32 v[0:1], v5, off
	global_load_b32 v5, v[36:37], off offset:268
	s_wait_loadcnt 0x0
	v_lshrrev_b32_e32 v8, 16, v5
	s_delay_alu instid0(VALU_DEP_1) | instskip(SKIP_1) | instid1(VALU_DEP_2)
	v_mul_f16_e32 v9, v7, v8
	v_mul_f16_e32 v8, v6, v8
	v_fmac_f16_e32 v9, v6, v5
	s_delay_alu instid0(VALU_DEP_2) | instskip(NEXT) | instid1(VALU_DEP_2)
	v_fma_f16 v5, v5, v7, -v8
	v_cvt_f32_f16_e32 v6, v9
	s_delay_alu instid0(VALU_DEP_2) | instskip(NEXT) | instid1(VALU_DEP_2)
	v_cvt_f32_f16_e32 v7, v5
	v_cvt_f64_f32_e32 v[5:6], v6
	s_delay_alu instid0(VALU_DEP_2) | instskip(NEXT) | instid1(VALU_DEP_2)
	v_cvt_f64_f32_e32 v[7:8], v7
	v_mul_f64_e32 v[5:6], s[8:9], v[5:6]
	s_delay_alu instid0(VALU_DEP_2) | instskip(NEXT) | instid1(VALU_DEP_2)
	v_mul_f64_e32 v[7:8], s[8:9], v[7:8]
	v_and_or_b32 v5, 0x1ff, v6, v5
	s_delay_alu instid0(VALU_DEP_2)
	v_and_or_b32 v7, 0x1ff, v8, v7
	v_lshrrev_b32_e32 v9, 8, v6
	v_bfe_u32 v10, v6, 20, 11
	v_lshrrev_b32_e32 v11, 8, v8
	v_cmp_ne_u32_e32 vcc_lo, 0, v5
	v_bfe_u32 v12, v8, 20, 11
	v_lshrrev_b32_e32 v6, 16, v6
	v_sub_nc_u32_e32 v13, 0x3f1, v10
	v_add_nc_u32_e32 v10, 0xfffffc10, v10
	s_wait_alu 0xfffd
	v_cndmask_b32_e64 v5, 0, 1, vcc_lo
	v_cmp_ne_u32_e32 vcc_lo, 0, v7
	v_lshrrev_b32_e32 v8, 16, v8
	s_delay_alu instid0(VALU_DEP_3) | instskip(SKIP_4) | instid1(VALU_DEP_3)
	v_and_or_b32 v5, 0xffe, v9, v5
	s_wait_alu 0xfffd
	v_cndmask_b32_e64 v7, 0, 1, vcc_lo
	v_sub_nc_u32_e32 v9, 0x3f1, v12
	v_add_nc_u32_e32 v12, 0xfffffc10, v12
	v_and_or_b32 v7, 0xffe, v11, v7
	v_med3_i32 v11, v13, 0, 13
	v_or_b32_e32 v13, 0x1000, v5
	v_med3_i32 v9, v9, 0, 13
	s_delay_alu instid0(VALU_DEP_4) | instskip(NEXT) | instid1(VALU_DEP_3)
	v_or_b32_e32 v14, 0x1000, v7
	v_lshrrev_b32_e32 v15, v11, v13
	s_delay_alu instid0(VALU_DEP_2) | instskip(NEXT) | instid1(VALU_DEP_2)
	v_lshrrev_b32_e32 v16, v9, v14
	v_lshlrev_b32_e32 v11, v11, v15
	s_delay_alu instid0(VALU_DEP_2) | instskip(NEXT) | instid1(VALU_DEP_2)
	v_lshlrev_b32_e32 v9, v9, v16
	v_cmp_ne_u32_e32 vcc_lo, v11, v13
	v_lshl_or_b32 v13, v10, 12, v5
	s_wait_alu 0xfffd
	v_cndmask_b32_e64 v11, 0, 1, vcc_lo
	v_cmp_ne_u32_e32 vcc_lo, v9, v14
	v_lshl_or_b32 v14, v12, 12, v7
	s_delay_alu instid0(VALU_DEP_3) | instskip(SKIP_3) | instid1(VALU_DEP_2)
	v_or_b32_e32 v11, v15, v11
	s_wait_alu 0xfffd
	v_cndmask_b32_e64 v9, 0, 1, vcc_lo
	v_cmp_gt_i32_e32 vcc_lo, 1, v10
	v_or_b32_e32 v9, v16, v9
	s_wait_alu 0xfffd
	v_cndmask_b32_e32 v11, v13, v11, vcc_lo
	v_cmp_gt_i32_e32 vcc_lo, 1, v12
	s_delay_alu instid0(VALU_DEP_2)
	v_and_b32_e32 v13, 7, v11
	s_wait_alu 0xfffd
	v_cndmask_b32_e32 v9, v14, v9, vcc_lo
	v_cmp_ne_u32_e32 vcc_lo, 0, v5
	v_lshrrev_b32_e32 v11, 2, v11
	v_cmp_eq_u32_e64 s0, 3, v13
	s_delay_alu instid0(VALU_DEP_4)
	v_and_b32_e32 v14, 7, v9
	s_wait_alu 0xfffd
	v_cndmask_b32_e64 v5, 0, 1, vcc_lo
	v_cmp_ne_u32_e32 vcc_lo, 0, v7
	v_lshrrev_b32_e32 v9, 2, v9
	v_cmp_lt_i32_e64 s1, 5, v14
	v_cmp_eq_u32_e64 s2, 3, v14
	s_wait_alu 0xfffd
	v_cndmask_b32_e64 v7, 0, 1, vcc_lo
	v_cmp_lt_i32_e32 vcc_lo, 5, v13
	v_lshl_or_b32 v5, v5, 9, 0x7c00
	s_delay_alu instid0(VALU_DEP_3)
	v_lshl_or_b32 v7, v7, 9, 0x7c00
	s_or_b32 vcc_lo, s0, vcc_lo
	s_wait_alu 0xfffe
	v_add_co_ci_u32_e32 v11, vcc_lo, 0, v11, vcc_lo
	s_or_b32 vcc_lo, s2, s1
	s_wait_alu 0xfffe
	v_add_co_ci_u32_e32 v9, vcc_lo, 0, v9, vcc_lo
	v_cmp_gt_i32_e32 vcc_lo, 31, v10
	s_wait_alu 0xfffd
	v_cndmask_b32_e32 v11, 0x7c00, v11, vcc_lo
	v_cmp_gt_i32_e32 vcc_lo, 31, v12
	s_wait_alu 0xfffd
	v_cndmask_b32_e32 v9, 0x7c00, v9, vcc_lo
	v_cmp_eq_u32_e32 vcc_lo, 0x40f, v10
	s_wait_alu 0xfffd
	v_cndmask_b32_e32 v5, v11, v5, vcc_lo
	v_cmp_eq_u32_e32 vcc_lo, 0x40f, v12
	s_delay_alu instid0(VALU_DEP_2)
	v_and_or_b32 v5, 0x8000, v6, v5
	s_wait_alu 0xfffd
	v_cndmask_b32_e32 v7, v9, v7, vcc_lo
	v_add_co_u32 v0, vcc_lo, v0, s6
	s_wait_alu 0xfffd
	v_add_co_ci_u32_e32 v1, vcc_lo, s7, v1, vcc_lo
	s_delay_alu instid0(VALU_DEP_3) | instskip(SKIP_1) | instid1(VALU_DEP_1)
	v_and_or_b32 v6, 0x8000, v8, v7
	v_and_b32_e32 v5, 0xffff, v5
	v_lshl_or_b32 v5, v6, 16, v5
	global_store_b32 v[0:1], v5, off
	global_load_b32 v7, v[36:37], off offset:368
	ds_load_2addr_b32 v[5:6], v72 offset0:92 offset1:117
	s_wait_dscnt 0x0
	v_lshrrev_b32_e32 v8, 16, v5
	s_wait_loadcnt 0x0
	v_lshrrev_b32_e32 v9, 16, v7
	s_delay_alu instid0(VALU_DEP_1) | instskip(SKIP_1) | instid1(VALU_DEP_2)
	v_mul_f16_e32 v10, v8, v9
	v_mul_f16_e32 v9, v5, v9
	v_fmac_f16_e32 v10, v5, v7
	s_delay_alu instid0(VALU_DEP_2) | instskip(NEXT) | instid1(VALU_DEP_2)
	v_fma_f16 v5, v7, v8, -v9
	v_cvt_f32_f16_e32 v7, v10
	s_delay_alu instid0(VALU_DEP_2) | instskip(NEXT) | instid1(VALU_DEP_2)
	v_cvt_f32_f16_e32 v5, v5
	v_cvt_f64_f32_e32 v[7:8], v7
	s_delay_alu instid0(VALU_DEP_2) | instskip(NEXT) | instid1(VALU_DEP_2)
	v_cvt_f64_f32_e32 v[9:10], v5
	v_mul_f64_e32 v[7:8], s[8:9], v[7:8]
	s_delay_alu instid0(VALU_DEP_2) | instskip(NEXT) | instid1(VALU_DEP_2)
	v_mul_f64_e32 v[9:10], s[8:9], v[9:10]
	v_and_or_b32 v5, 0x1ff, v8, v7
	s_delay_alu instid0(VALU_DEP_2)
	v_and_or_b32 v9, 0x1ff, v10, v9
	v_lshrrev_b32_e32 v7, 8, v8
	v_bfe_u32 v11, v8, 20, 11
	v_lshrrev_b32_e32 v12, 8, v10
	v_cmp_ne_u32_e32 vcc_lo, 0, v5
	v_bfe_u32 v13, v10, 20, 11
	v_lshrrev_b32_e32 v8, 16, v8
	v_sub_nc_u32_e32 v14, 0x3f1, v11
	v_add_nc_u32_e32 v11, 0xfffffc10, v11
	s_wait_alu 0xfffd
	v_cndmask_b32_e64 v5, 0, 1, vcc_lo
	v_cmp_ne_u32_e32 vcc_lo, 0, v9
	v_lshrrev_b32_e32 v10, 16, v10
	s_delay_alu instid0(VALU_DEP_3) | instskip(SKIP_4) | instid1(VALU_DEP_3)
	v_and_or_b32 v5, 0xffe, v7, v5
	s_wait_alu 0xfffd
	v_cndmask_b32_e64 v9, 0, 1, vcc_lo
	v_sub_nc_u32_e32 v7, 0x3f1, v13
	v_add_nc_u32_e32 v13, 0xfffffc10, v13
	v_and_or_b32 v9, 0xffe, v12, v9
	v_med3_i32 v12, v14, 0, 13
	v_or_b32_e32 v14, 0x1000, v5
	v_med3_i32 v7, v7, 0, 13
	s_delay_alu instid0(VALU_DEP_4) | instskip(NEXT) | instid1(VALU_DEP_3)
	v_or_b32_e32 v15, 0x1000, v9
	v_lshrrev_b32_e32 v16, v12, v14
	s_delay_alu instid0(VALU_DEP_2) | instskip(NEXT) | instid1(VALU_DEP_2)
	v_lshrrev_b32_e32 v17, v7, v15
	v_lshlrev_b32_e32 v12, v12, v16
	s_delay_alu instid0(VALU_DEP_2) | instskip(NEXT) | instid1(VALU_DEP_2)
	v_lshlrev_b32_e32 v7, v7, v17
	v_cmp_ne_u32_e32 vcc_lo, v12, v14
	v_lshl_or_b32 v14, v11, 12, v5
	s_wait_alu 0xfffd
	v_cndmask_b32_e64 v12, 0, 1, vcc_lo
	v_cmp_ne_u32_e32 vcc_lo, v7, v15
	v_lshl_or_b32 v15, v13, 12, v9
	s_delay_alu instid0(VALU_DEP_3) | instskip(SKIP_3) | instid1(VALU_DEP_2)
	v_or_b32_e32 v12, v16, v12
	s_wait_alu 0xfffd
	v_cndmask_b32_e64 v7, 0, 1, vcc_lo
	v_cmp_gt_i32_e32 vcc_lo, 1, v11
	v_or_b32_e32 v7, v17, v7
	s_wait_alu 0xfffd
	v_cndmask_b32_e32 v12, v14, v12, vcc_lo
	v_cmp_gt_i32_e32 vcc_lo, 1, v13
	s_wait_alu 0xfffd
	s_delay_alu instid0(VALU_DEP_2) | instskip(SKIP_2) | instid1(VALU_DEP_3)
	v_dual_cndmask_b32 v7, v15, v7 :: v_dual_and_b32 v14, 7, v12
	v_cmp_ne_u32_e32 vcc_lo, 0, v5
	v_lshrrev_b32_e32 v12, 2, v12
	v_cmp_eq_u32_e64 s0, 3, v14
	s_delay_alu instid0(VALU_DEP_4)
	v_and_b32_e32 v15, 7, v7
	s_wait_alu 0xfffd
	v_cndmask_b32_e64 v5, 0, 1, vcc_lo
	v_cmp_ne_u32_e32 vcc_lo, 0, v9
	v_lshrrev_b32_e32 v7, 2, v7
	v_cmp_lt_i32_e64 s1, 5, v15
	v_cmp_eq_u32_e64 s2, 3, v15
	s_wait_alu 0xfffd
	v_cndmask_b32_e64 v9, 0, 1, vcc_lo
	v_cmp_lt_i32_e32 vcc_lo, 5, v14
	v_lshl_or_b32 v5, v5, 9, 0x7c00
	s_delay_alu instid0(VALU_DEP_3)
	v_lshl_or_b32 v9, v9, 9, 0x7c00
	s_or_b32 vcc_lo, s0, vcc_lo
	s_wait_alu 0xfffe
	v_add_co_ci_u32_e32 v12, vcc_lo, 0, v12, vcc_lo
	s_or_b32 vcc_lo, s2, s1
	s_wait_alu 0xfffe
	v_add_co_ci_u32_e32 v7, vcc_lo, 0, v7, vcc_lo
	v_cmp_gt_i32_e32 vcc_lo, 31, v11
	s_wait_alu 0xfffd
	v_cndmask_b32_e32 v12, 0x7c00, v12, vcc_lo
	v_cmp_gt_i32_e32 vcc_lo, 31, v13
	s_wait_alu 0xfffd
	v_cndmask_b32_e32 v7, 0x7c00, v7, vcc_lo
	v_cmp_eq_u32_e32 vcc_lo, 0x40f, v11
	s_wait_alu 0xfffd
	v_cndmask_b32_e32 v5, v12, v5, vcc_lo
	v_cmp_eq_u32_e32 vcc_lo, 0x40f, v13
	s_delay_alu instid0(VALU_DEP_2)
	v_and_or_b32 v5, 0x8000, v8, v5
	s_wait_alu 0xfffd
	v_cndmask_b32_e32 v7, v7, v9, vcc_lo
	v_add_co_u32 v0, vcc_lo, v0, s6
	s_wait_alu 0xfffd
	v_add_co_ci_u32_e32 v1, vcc_lo, s7, v1, vcc_lo
	s_delay_alu instid0(VALU_DEP_3) | instskip(SKIP_1) | instid1(VALU_DEP_1)
	v_and_or_b32 v7, 0x8000, v10, v7
	v_and_b32_e32 v5, 0xffff, v5
	v_lshl_or_b32 v5, v7, 16, v5
	v_lshrrev_b32_e32 v7, 16, v6
	global_store_b32 v[0:1], v5, off
	global_load_b32 v5, v[36:37], off offset:468
	s_wait_loadcnt 0x0
	v_lshrrev_b32_e32 v8, 16, v5
	s_delay_alu instid0(VALU_DEP_1) | instskip(SKIP_1) | instid1(VALU_DEP_2)
	v_mul_f16_e32 v9, v7, v8
	v_mul_f16_e32 v8, v6, v8
	v_fmac_f16_e32 v9, v6, v5
	s_delay_alu instid0(VALU_DEP_2) | instskip(NEXT) | instid1(VALU_DEP_2)
	v_fma_f16 v5, v5, v7, -v8
	v_cvt_f32_f16_e32 v6, v9
	s_delay_alu instid0(VALU_DEP_2) | instskip(NEXT) | instid1(VALU_DEP_2)
	v_cvt_f32_f16_e32 v7, v5
	v_cvt_f64_f32_e32 v[5:6], v6
	s_delay_alu instid0(VALU_DEP_2) | instskip(NEXT) | instid1(VALU_DEP_2)
	v_cvt_f64_f32_e32 v[7:8], v7
	v_mul_f64_e32 v[5:6], s[8:9], v[5:6]
	s_delay_alu instid0(VALU_DEP_2) | instskip(NEXT) | instid1(VALU_DEP_2)
	v_mul_f64_e32 v[7:8], s[8:9], v[7:8]
	v_and_or_b32 v5, 0x1ff, v6, v5
	s_delay_alu instid0(VALU_DEP_2)
	v_and_or_b32 v7, 0x1ff, v8, v7
	v_lshrrev_b32_e32 v9, 8, v6
	v_bfe_u32 v10, v6, 20, 11
	v_lshrrev_b32_e32 v11, 8, v8
	v_cmp_ne_u32_e32 vcc_lo, 0, v5
	v_bfe_u32 v12, v8, 20, 11
	v_lshrrev_b32_e32 v6, 16, v6
	v_sub_nc_u32_e32 v13, 0x3f1, v10
	v_add_nc_u32_e32 v10, 0xfffffc10, v10
	s_wait_alu 0xfffd
	v_cndmask_b32_e64 v5, 0, 1, vcc_lo
	v_cmp_ne_u32_e32 vcc_lo, 0, v7
	v_lshrrev_b32_e32 v8, 16, v8
	s_delay_alu instid0(VALU_DEP_3) | instskip(SKIP_4) | instid1(VALU_DEP_3)
	v_and_or_b32 v5, 0xffe, v9, v5
	s_wait_alu 0xfffd
	v_cndmask_b32_e64 v7, 0, 1, vcc_lo
	v_sub_nc_u32_e32 v9, 0x3f1, v12
	v_add_nc_u32_e32 v12, 0xfffffc10, v12
	v_and_or_b32 v7, 0xffe, v11, v7
	v_med3_i32 v11, v13, 0, 13
	v_or_b32_e32 v13, 0x1000, v5
	v_med3_i32 v9, v9, 0, 13
	s_delay_alu instid0(VALU_DEP_4) | instskip(NEXT) | instid1(VALU_DEP_3)
	v_or_b32_e32 v14, 0x1000, v7
	v_lshrrev_b32_e32 v15, v11, v13
	s_delay_alu instid0(VALU_DEP_2) | instskip(NEXT) | instid1(VALU_DEP_2)
	v_lshrrev_b32_e32 v16, v9, v14
	v_lshlrev_b32_e32 v11, v11, v15
	s_delay_alu instid0(VALU_DEP_2) | instskip(NEXT) | instid1(VALU_DEP_2)
	v_lshlrev_b32_e32 v9, v9, v16
	v_cmp_ne_u32_e32 vcc_lo, v11, v13
	v_lshl_or_b32 v13, v10, 12, v5
	s_wait_alu 0xfffd
	v_cndmask_b32_e64 v11, 0, 1, vcc_lo
	v_cmp_ne_u32_e32 vcc_lo, v9, v14
	v_lshl_or_b32 v14, v12, 12, v7
	s_delay_alu instid0(VALU_DEP_3) | instskip(SKIP_3) | instid1(VALU_DEP_2)
	v_or_b32_e32 v11, v15, v11
	s_wait_alu 0xfffd
	v_cndmask_b32_e64 v9, 0, 1, vcc_lo
	v_cmp_gt_i32_e32 vcc_lo, 1, v10
	v_or_b32_e32 v9, v16, v9
	s_wait_alu 0xfffd
	v_cndmask_b32_e32 v11, v13, v11, vcc_lo
	v_cmp_gt_i32_e32 vcc_lo, 1, v12
	s_delay_alu instid0(VALU_DEP_2)
	v_and_b32_e32 v13, 7, v11
	s_wait_alu 0xfffd
	v_cndmask_b32_e32 v9, v14, v9, vcc_lo
	v_cmp_ne_u32_e32 vcc_lo, 0, v5
	v_lshrrev_b32_e32 v11, 2, v11
	v_cmp_eq_u32_e64 s0, 3, v13
	s_delay_alu instid0(VALU_DEP_4)
	v_and_b32_e32 v14, 7, v9
	s_wait_alu 0xfffd
	v_cndmask_b32_e64 v5, 0, 1, vcc_lo
	v_cmp_ne_u32_e32 vcc_lo, 0, v7
	v_lshrrev_b32_e32 v9, 2, v9
	v_cmp_lt_i32_e64 s1, 5, v14
	v_cmp_eq_u32_e64 s2, 3, v14
	s_wait_alu 0xfffd
	v_cndmask_b32_e64 v7, 0, 1, vcc_lo
	v_cmp_lt_i32_e32 vcc_lo, 5, v13
	v_lshl_or_b32 v5, v5, 9, 0x7c00
	s_delay_alu instid0(VALU_DEP_3)
	v_lshl_or_b32 v7, v7, 9, 0x7c00
	s_or_b32 vcc_lo, s0, vcc_lo
	s_wait_alu 0xfffe
	v_add_co_ci_u32_e32 v11, vcc_lo, 0, v11, vcc_lo
	s_or_b32 vcc_lo, s2, s1
	s_wait_alu 0xfffe
	v_add_co_ci_u32_e32 v9, vcc_lo, 0, v9, vcc_lo
	v_cmp_gt_i32_e32 vcc_lo, 31, v10
	s_wait_alu 0xfffd
	v_cndmask_b32_e32 v11, 0x7c00, v11, vcc_lo
	v_cmp_gt_i32_e32 vcc_lo, 31, v12
	s_wait_alu 0xfffd
	v_cndmask_b32_e32 v9, 0x7c00, v9, vcc_lo
	v_cmp_eq_u32_e32 vcc_lo, 0x40f, v10
	s_wait_alu 0xfffd
	v_cndmask_b32_e32 v5, v11, v5, vcc_lo
	v_cmp_eq_u32_e32 vcc_lo, 0x40f, v12
	s_delay_alu instid0(VALU_DEP_2)
	v_and_or_b32 v5, 0x8000, v6, v5
	s_wait_alu 0xfffd
	v_cndmask_b32_e32 v7, v9, v7, vcc_lo
	v_add_co_u32 v0, vcc_lo, v0, s6
	s_wait_alu 0xfffd
	v_add_co_ci_u32_e32 v1, vcc_lo, s7, v1, vcc_lo
	s_delay_alu instid0(VALU_DEP_3) | instskip(SKIP_1) | instid1(VALU_DEP_1)
	v_and_or_b32 v6, 0x8000, v8, v7
	v_and_b32_e32 v5, 0xffff, v5
	v_lshl_or_b32 v5, v6, 16, v5
	global_store_b32 v[0:1], v5, off
	global_load_b32 v7, v[36:37], off offset:568
	ds_load_2addr_b32 v[5:6], v72 offset0:142 offset1:167
	s_wait_dscnt 0x0
	v_lshrrev_b32_e32 v8, 16, v5
	s_wait_loadcnt 0x0
	v_lshrrev_b32_e32 v9, 16, v7
	s_delay_alu instid0(VALU_DEP_1) | instskip(SKIP_1) | instid1(VALU_DEP_2)
	v_mul_f16_e32 v10, v8, v9
	v_mul_f16_e32 v9, v5, v9
	v_fmac_f16_e32 v10, v5, v7
	s_delay_alu instid0(VALU_DEP_2) | instskip(NEXT) | instid1(VALU_DEP_2)
	v_fma_f16 v5, v7, v8, -v9
	v_cvt_f32_f16_e32 v7, v10
	s_delay_alu instid0(VALU_DEP_2) | instskip(NEXT) | instid1(VALU_DEP_2)
	v_cvt_f32_f16_e32 v5, v5
	v_cvt_f64_f32_e32 v[7:8], v7
	s_delay_alu instid0(VALU_DEP_2) | instskip(NEXT) | instid1(VALU_DEP_2)
	v_cvt_f64_f32_e32 v[9:10], v5
	v_mul_f64_e32 v[7:8], s[8:9], v[7:8]
	s_delay_alu instid0(VALU_DEP_2) | instskip(NEXT) | instid1(VALU_DEP_2)
	v_mul_f64_e32 v[9:10], s[8:9], v[9:10]
	v_and_or_b32 v5, 0x1ff, v8, v7
	s_delay_alu instid0(VALU_DEP_2)
	v_and_or_b32 v9, 0x1ff, v10, v9
	v_lshrrev_b32_e32 v7, 8, v8
	v_bfe_u32 v11, v8, 20, 11
	v_lshrrev_b32_e32 v12, 8, v10
	v_cmp_ne_u32_e32 vcc_lo, 0, v5
	v_bfe_u32 v13, v10, 20, 11
	v_lshrrev_b32_e32 v8, 16, v8
	v_sub_nc_u32_e32 v14, 0x3f1, v11
	v_add_nc_u32_e32 v11, 0xfffffc10, v11
	s_wait_alu 0xfffd
	v_cndmask_b32_e64 v5, 0, 1, vcc_lo
	v_cmp_ne_u32_e32 vcc_lo, 0, v9
	v_lshrrev_b32_e32 v10, 16, v10
	s_delay_alu instid0(VALU_DEP_3) | instskip(SKIP_4) | instid1(VALU_DEP_3)
	v_and_or_b32 v5, 0xffe, v7, v5
	s_wait_alu 0xfffd
	v_cndmask_b32_e64 v9, 0, 1, vcc_lo
	v_sub_nc_u32_e32 v7, 0x3f1, v13
	v_add_nc_u32_e32 v13, 0xfffffc10, v13
	v_and_or_b32 v9, 0xffe, v12, v9
	v_med3_i32 v12, v14, 0, 13
	v_or_b32_e32 v14, 0x1000, v5
	v_med3_i32 v7, v7, 0, 13
	s_delay_alu instid0(VALU_DEP_4) | instskip(NEXT) | instid1(VALU_DEP_3)
	v_or_b32_e32 v15, 0x1000, v9
	v_lshrrev_b32_e32 v16, v12, v14
	s_delay_alu instid0(VALU_DEP_2) | instskip(NEXT) | instid1(VALU_DEP_2)
	v_lshrrev_b32_e32 v17, v7, v15
	v_lshlrev_b32_e32 v12, v12, v16
	s_delay_alu instid0(VALU_DEP_2) | instskip(NEXT) | instid1(VALU_DEP_2)
	v_lshlrev_b32_e32 v7, v7, v17
	v_cmp_ne_u32_e32 vcc_lo, v12, v14
	v_lshl_or_b32 v14, v11, 12, v5
	s_wait_alu 0xfffd
	v_cndmask_b32_e64 v12, 0, 1, vcc_lo
	v_cmp_ne_u32_e32 vcc_lo, v7, v15
	v_lshl_or_b32 v15, v13, 12, v9
	s_delay_alu instid0(VALU_DEP_3) | instskip(SKIP_3) | instid1(VALU_DEP_2)
	v_or_b32_e32 v12, v16, v12
	s_wait_alu 0xfffd
	v_cndmask_b32_e64 v7, 0, 1, vcc_lo
	v_cmp_gt_i32_e32 vcc_lo, 1, v11
	v_or_b32_e32 v7, v17, v7
	s_wait_alu 0xfffd
	v_cndmask_b32_e32 v12, v14, v12, vcc_lo
	v_cmp_gt_i32_e32 vcc_lo, 1, v13
	s_wait_alu 0xfffd
	s_delay_alu instid0(VALU_DEP_2) | instskip(SKIP_2) | instid1(VALU_DEP_3)
	v_dual_cndmask_b32 v7, v15, v7 :: v_dual_and_b32 v14, 7, v12
	v_cmp_ne_u32_e32 vcc_lo, 0, v5
	v_lshrrev_b32_e32 v12, 2, v12
	v_cmp_eq_u32_e64 s0, 3, v14
	s_delay_alu instid0(VALU_DEP_4)
	v_and_b32_e32 v15, 7, v7
	s_wait_alu 0xfffd
	v_cndmask_b32_e64 v5, 0, 1, vcc_lo
	v_cmp_ne_u32_e32 vcc_lo, 0, v9
	v_lshrrev_b32_e32 v7, 2, v7
	v_cmp_lt_i32_e64 s1, 5, v15
	v_cmp_eq_u32_e64 s2, 3, v15
	s_wait_alu 0xfffd
	v_cndmask_b32_e64 v9, 0, 1, vcc_lo
	v_cmp_lt_i32_e32 vcc_lo, 5, v14
	v_lshl_or_b32 v5, v5, 9, 0x7c00
	s_delay_alu instid0(VALU_DEP_3)
	v_lshl_or_b32 v9, v9, 9, 0x7c00
	s_or_b32 vcc_lo, s0, vcc_lo
	s_wait_alu 0xfffe
	v_add_co_ci_u32_e32 v12, vcc_lo, 0, v12, vcc_lo
	s_or_b32 vcc_lo, s2, s1
	s_wait_alu 0xfffe
	v_add_co_ci_u32_e32 v7, vcc_lo, 0, v7, vcc_lo
	v_cmp_gt_i32_e32 vcc_lo, 31, v11
	s_wait_alu 0xfffd
	v_cndmask_b32_e32 v12, 0x7c00, v12, vcc_lo
	v_cmp_gt_i32_e32 vcc_lo, 31, v13
	s_wait_alu 0xfffd
	v_cndmask_b32_e32 v7, 0x7c00, v7, vcc_lo
	v_cmp_eq_u32_e32 vcc_lo, 0x40f, v11
	s_wait_alu 0xfffd
	v_cndmask_b32_e32 v5, v12, v5, vcc_lo
	v_cmp_eq_u32_e32 vcc_lo, 0x40f, v13
	s_delay_alu instid0(VALU_DEP_2)
	v_and_or_b32 v5, 0x8000, v8, v5
	s_wait_alu 0xfffd
	v_cndmask_b32_e32 v7, v7, v9, vcc_lo
	v_add_co_u32 v0, vcc_lo, v0, s6
	s_wait_alu 0xfffd
	v_add_co_ci_u32_e32 v1, vcc_lo, s7, v1, vcc_lo
	s_delay_alu instid0(VALU_DEP_3) | instskip(SKIP_1) | instid1(VALU_DEP_1)
	v_and_or_b32 v7, 0x8000, v10, v7
	v_and_b32_e32 v5, 0xffff, v5
	v_lshl_or_b32 v5, v7, 16, v5
	v_lshrrev_b32_e32 v7, 16, v6
	global_store_b32 v[0:1], v5, off
	global_load_b32 v5, v[36:37], off offset:668
	s_wait_loadcnt 0x0
	v_lshrrev_b32_e32 v8, 16, v5
	s_delay_alu instid0(VALU_DEP_1) | instskip(SKIP_1) | instid1(VALU_DEP_2)
	v_mul_f16_e32 v9, v7, v8
	v_mul_f16_e32 v8, v6, v8
	v_fmac_f16_e32 v9, v6, v5
	s_delay_alu instid0(VALU_DEP_2) | instskip(NEXT) | instid1(VALU_DEP_2)
	v_fma_f16 v5, v5, v7, -v8
	v_cvt_f32_f16_e32 v6, v9
	s_delay_alu instid0(VALU_DEP_2) | instskip(NEXT) | instid1(VALU_DEP_2)
	v_cvt_f32_f16_e32 v7, v5
	v_cvt_f64_f32_e32 v[5:6], v6
	s_delay_alu instid0(VALU_DEP_2) | instskip(NEXT) | instid1(VALU_DEP_2)
	v_cvt_f64_f32_e32 v[7:8], v7
	v_mul_f64_e32 v[5:6], s[8:9], v[5:6]
	s_delay_alu instid0(VALU_DEP_2) | instskip(NEXT) | instid1(VALU_DEP_2)
	v_mul_f64_e32 v[7:8], s[8:9], v[7:8]
	v_and_or_b32 v5, 0x1ff, v6, v5
	s_delay_alu instid0(VALU_DEP_2)
	v_and_or_b32 v7, 0x1ff, v8, v7
	v_lshrrev_b32_e32 v9, 8, v6
	v_bfe_u32 v10, v6, 20, 11
	v_lshrrev_b32_e32 v11, 8, v8
	v_cmp_ne_u32_e32 vcc_lo, 0, v5
	v_bfe_u32 v12, v8, 20, 11
	v_lshrrev_b32_e32 v6, 16, v6
	v_sub_nc_u32_e32 v13, 0x3f1, v10
	v_add_nc_u32_e32 v10, 0xfffffc10, v10
	s_wait_alu 0xfffd
	v_cndmask_b32_e64 v5, 0, 1, vcc_lo
	v_cmp_ne_u32_e32 vcc_lo, 0, v7
	v_lshrrev_b32_e32 v8, 16, v8
	s_delay_alu instid0(VALU_DEP_3) | instskip(SKIP_4) | instid1(VALU_DEP_3)
	v_and_or_b32 v5, 0xffe, v9, v5
	s_wait_alu 0xfffd
	v_cndmask_b32_e64 v7, 0, 1, vcc_lo
	v_sub_nc_u32_e32 v9, 0x3f1, v12
	v_add_nc_u32_e32 v12, 0xfffffc10, v12
	v_and_or_b32 v7, 0xffe, v11, v7
	v_med3_i32 v11, v13, 0, 13
	v_or_b32_e32 v13, 0x1000, v5
	v_med3_i32 v9, v9, 0, 13
	s_delay_alu instid0(VALU_DEP_4) | instskip(NEXT) | instid1(VALU_DEP_3)
	v_or_b32_e32 v14, 0x1000, v7
	v_lshrrev_b32_e32 v15, v11, v13
	s_delay_alu instid0(VALU_DEP_2) | instskip(NEXT) | instid1(VALU_DEP_2)
	v_lshrrev_b32_e32 v16, v9, v14
	v_lshlrev_b32_e32 v11, v11, v15
	s_delay_alu instid0(VALU_DEP_2) | instskip(NEXT) | instid1(VALU_DEP_2)
	v_lshlrev_b32_e32 v9, v9, v16
	v_cmp_ne_u32_e32 vcc_lo, v11, v13
	v_lshl_or_b32 v13, v10, 12, v5
	s_wait_alu 0xfffd
	v_cndmask_b32_e64 v11, 0, 1, vcc_lo
	v_cmp_ne_u32_e32 vcc_lo, v9, v14
	v_lshl_or_b32 v14, v12, 12, v7
	s_delay_alu instid0(VALU_DEP_3) | instskip(SKIP_3) | instid1(VALU_DEP_2)
	v_or_b32_e32 v11, v15, v11
	s_wait_alu 0xfffd
	v_cndmask_b32_e64 v9, 0, 1, vcc_lo
	v_cmp_gt_i32_e32 vcc_lo, 1, v10
	v_or_b32_e32 v9, v16, v9
	s_wait_alu 0xfffd
	v_cndmask_b32_e32 v11, v13, v11, vcc_lo
	v_cmp_gt_i32_e32 vcc_lo, 1, v12
	s_delay_alu instid0(VALU_DEP_2)
	v_and_b32_e32 v13, 7, v11
	s_wait_alu 0xfffd
	v_cndmask_b32_e32 v9, v14, v9, vcc_lo
	v_cmp_ne_u32_e32 vcc_lo, 0, v5
	v_lshrrev_b32_e32 v11, 2, v11
	v_cmp_eq_u32_e64 s0, 3, v13
	s_delay_alu instid0(VALU_DEP_4)
	v_and_b32_e32 v14, 7, v9
	s_wait_alu 0xfffd
	v_cndmask_b32_e64 v5, 0, 1, vcc_lo
	v_cmp_ne_u32_e32 vcc_lo, 0, v7
	v_lshrrev_b32_e32 v9, 2, v9
	v_cmp_lt_i32_e64 s1, 5, v14
	v_cmp_eq_u32_e64 s2, 3, v14
	s_wait_alu 0xfffd
	v_cndmask_b32_e64 v7, 0, 1, vcc_lo
	v_cmp_lt_i32_e32 vcc_lo, 5, v13
	v_lshl_or_b32 v5, v5, 9, 0x7c00
	s_delay_alu instid0(VALU_DEP_3)
	v_lshl_or_b32 v7, v7, 9, 0x7c00
	s_or_b32 vcc_lo, s0, vcc_lo
	s_wait_alu 0xfffe
	v_add_co_ci_u32_e32 v11, vcc_lo, 0, v11, vcc_lo
	s_or_b32 vcc_lo, s2, s1
	s_wait_alu 0xfffe
	v_add_co_ci_u32_e32 v9, vcc_lo, 0, v9, vcc_lo
	v_cmp_gt_i32_e32 vcc_lo, 31, v10
	s_wait_alu 0xfffd
	v_cndmask_b32_e32 v11, 0x7c00, v11, vcc_lo
	v_cmp_gt_i32_e32 vcc_lo, 31, v12
	s_wait_alu 0xfffd
	v_cndmask_b32_e32 v9, 0x7c00, v9, vcc_lo
	v_cmp_eq_u32_e32 vcc_lo, 0x40f, v10
	s_wait_alu 0xfffd
	v_cndmask_b32_e32 v5, v11, v5, vcc_lo
	v_cmp_eq_u32_e32 vcc_lo, 0x40f, v12
	s_delay_alu instid0(VALU_DEP_2)
	v_and_or_b32 v5, 0x8000, v6, v5
	s_wait_alu 0xfffd
	v_cndmask_b32_e32 v7, v9, v7, vcc_lo
	v_add_co_u32 v0, vcc_lo, v0, s6
	s_wait_alu 0xfffd
	v_add_co_ci_u32_e32 v1, vcc_lo, s7, v1, vcc_lo
	s_delay_alu instid0(VALU_DEP_3) | instskip(SKIP_1) | instid1(VALU_DEP_1)
	v_and_or_b32 v6, 0x8000, v8, v7
	v_and_b32_e32 v5, 0xffff, v5
	v_lshl_or_b32 v5, v6, 16, v5
	global_store_b32 v[0:1], v5, off
	global_load_b32 v7, v[36:37], off offset:768
	ds_load_2addr_b32 v[5:6], v72 offset0:192 offset1:217
	v_mad_co_u64_u32 v[0:1], null, 0xc8, s4, v[0:1]
	s_delay_alu instid0(VALU_DEP_1) | instskip(SKIP_4) | instid1(VALU_DEP_1)
	v_add_nc_u32_e32 v1, s3, v1
	s_wait_dscnt 0x0
	v_lshrrev_b32_e32 v8, 16, v5
	s_wait_loadcnt 0x0
	v_lshrrev_b32_e32 v9, 16, v7
	v_mul_f16_e32 v10, v8, v9
	v_mul_f16_e32 v9, v5, v9
	s_delay_alu instid0(VALU_DEP_2) | instskip(NEXT) | instid1(VALU_DEP_2)
	v_fmac_f16_e32 v10, v5, v7
	v_fma_f16 v5, v7, v8, -v9
	s_delay_alu instid0(VALU_DEP_2) | instskip(NEXT) | instid1(VALU_DEP_2)
	v_cvt_f32_f16_e32 v7, v10
	v_cvt_f32_f16_e32 v5, v5
	s_delay_alu instid0(VALU_DEP_2) | instskip(NEXT) | instid1(VALU_DEP_2)
	v_cvt_f64_f32_e32 v[7:8], v7
	v_cvt_f64_f32_e32 v[9:10], v5
	s_delay_alu instid0(VALU_DEP_2) | instskip(NEXT) | instid1(VALU_DEP_2)
	v_mul_f64_e32 v[7:8], s[8:9], v[7:8]
	v_mul_f64_e32 v[9:10], s[8:9], v[9:10]
	s_delay_alu instid0(VALU_DEP_2) | instskip(SKIP_2) | instid1(VALU_DEP_4)
	v_and_or_b32 v5, 0x1ff, v8, v7
	v_lshrrev_b32_e32 v7, 8, v8
	v_bfe_u32 v13, v8, 20, 11
	v_and_or_b32 v9, 0x1ff, v10, v9
	v_lshrrev_b32_e32 v11, 8, v10
	v_cmp_ne_u32_e32 vcc_lo, 0, v5
	v_bfe_u32 v14, v10, 20, 11
	v_sub_nc_u32_e32 v12, 0x3f1, v13
	v_lshrrev_b32_e32 v8, 16, v8
	v_lshrrev_b32_e32 v10, 16, v10
	s_wait_alu 0xfffd
	v_cndmask_b32_e64 v5, 0, 1, vcc_lo
	v_cmp_ne_u32_e32 vcc_lo, 0, v9
	v_sub_nc_u32_e32 v15, 0x3f1, v14
	v_add_nc_u32_e32 v14, 0xfffffc10, v14
	s_delay_alu instid0(VALU_DEP_4)
	v_and_or_b32 v7, 0xffe, v7, v5
	v_med3_i32 v5, v12, 0, 13
	s_wait_alu 0xfffd
	v_cndmask_b32_e64 v9, 0, 1, vcc_lo
	v_med3_i32 v15, v15, 0, 13
	v_or_b32_e32 v16, 0x1000, v7
	s_delay_alu instid0(VALU_DEP_3) | instskip(NEXT) | instid1(VALU_DEP_2)
	v_and_or_b32 v9, 0xffe, v11, v9
	v_lshrrev_b32_e32 v18, v5, v16
	s_delay_alu instid0(VALU_DEP_2) | instskip(NEXT) | instid1(VALU_DEP_2)
	v_or_b32_e32 v17, 0x1000, v9
	v_lshlrev_b32_e32 v20, v5, v18
	s_delay_alu instid0(VALU_DEP_2) | instskip(NEXT) | instid1(VALU_DEP_2)
	v_lshrrev_b32_e32 v19, v15, v17
	v_cmp_ne_u32_e32 vcc_lo, v20, v16
	scratch_load_b32 v20, off, off offset:64 th:TH_LOAD_LU ; 4-byte Folded Reload
	v_mad_co_u64_u32 v[11:12], null, s4, v21, 0
	s_wait_alu 0xfffd
	v_cndmask_b32_e64 v16, 0, 1, vcc_lo
	s_delay_alu instid0(VALU_DEP_2) | instskip(SKIP_1) | instid1(VALU_DEP_2)
	v_dual_mov_b32 v5, v12 :: v_dual_lshlrev_b32 v12, v15, v19
	v_add_nc_u32_e32 v15, 0xfffffc10, v13
	v_cmp_ne_u32_e32 vcc_lo, v12, v17
	s_delay_alu instid0(VALU_DEP_3) | instskip(NEXT) | instid1(VALU_DEP_3)
	v_mad_co_u64_u32 v[12:13], null, s5, v21, v[5:6]
	v_lshl_or_b32 v5, v15, 12, v7
	v_or_b32_e32 v13, v18, v16
	s_wait_alu 0xfffd
	v_cndmask_b32_e64 v17, 0, 1, vcc_lo
	v_cmp_gt_i32_e32 vcc_lo, 1, v15
	v_lshl_or_b32 v16, v14, 12, v9
	s_delay_alu instid0(VALU_DEP_3)
	v_or_b32_e32 v17, v19, v17
	s_wait_alu 0xfffd
	v_cndmask_b32_e32 v5, v5, v13, vcc_lo
	v_cmp_gt_i32_e32 vcc_lo, 1, v14
	s_wait_alu 0xfffd
	v_cndmask_b32_e32 v13, v16, v17, vcc_lo
	v_cmp_ne_u32_e32 vcc_lo, 0, v7
	v_and_b32_e32 v16, 7, v5
	v_lshrrev_b32_e32 v5, 2, v5
	s_delay_alu instid0(VALU_DEP_4)
	v_and_b32_e32 v17, 7, v13
	s_wait_alu 0xfffd
	v_cndmask_b32_e64 v7, 0, 1, vcc_lo
	v_cmp_ne_u32_e32 vcc_lo, 0, v9
	v_cmp_eq_u32_e64 s0, 3, v16
	v_lshrrev_b32_e32 v13, 2, v13
	v_cmp_lt_i32_e64 s1, 5, v17
	v_cmp_eq_u32_e64 s2, 3, v17
	s_wait_alu 0xfffd
	v_cndmask_b32_e64 v9, 0, 1, vcc_lo
	v_cmp_lt_i32_e32 vcc_lo, 5, v16
	v_lshl_or_b32 v7, v7, 9, 0x7c00
	s_delay_alu instid0(VALU_DEP_3)
	v_lshl_or_b32 v9, v9, 9, 0x7c00
	s_or_b32 vcc_lo, s0, vcc_lo
	s_wait_alu 0xfffe
	v_add_co_ci_u32_e32 v5, vcc_lo, 0, v5, vcc_lo
	s_or_b32 vcc_lo, s2, s1
	s_wait_alu 0xfffe
	v_add_co_ci_u32_e32 v13, vcc_lo, 0, v13, vcc_lo
	v_cmp_gt_i32_e32 vcc_lo, 31, v15
	s_wait_alu 0xfffd
	v_cndmask_b32_e32 v5, 0x7c00, v5, vcc_lo
	v_cmp_gt_i32_e32 vcc_lo, 31, v14
	s_wait_alu 0xfffd
	v_cndmask_b32_e32 v13, 0x7c00, v13, vcc_lo
	v_cmp_eq_u32_e32 vcc_lo, 0x40f, v15
	s_wait_alu 0xfffd
	v_cndmask_b32_e32 v5, v5, v7, vcc_lo
	v_cmp_eq_u32_e32 vcc_lo, 0x40f, v14
	s_delay_alu instid0(VALU_DEP_2) | instskip(SKIP_3) | instid1(VALU_DEP_3)
	v_and_or_b32 v5, 0x8000, v8, v5
	s_wait_alu 0xfffd
	v_cndmask_b32_e32 v9, v13, v9, vcc_lo
	v_lshlrev_b64_e32 v[7:8], 2, v[11:12]
	v_and_b32_e32 v5, 0xffff, v5
	s_delay_alu instid0(VALU_DEP_3) | instskip(NEXT) | instid1(VALU_DEP_3)
	v_and_or_b32 v9, 0x8000, v10, v9
	v_add_co_u32 v7, vcc_lo, v2, v7
	s_wait_alu 0xfffd
	s_delay_alu instid0(VALU_DEP_4) | instskip(NEXT) | instid1(VALU_DEP_3)
	v_add_co_ci_u32_e32 v8, vcc_lo, v3, v8, vcc_lo
	v_lshl_or_b32 v5, v9, 16, v5
	global_store_b32 v[7:8], v5, off
	global_load_b32 v5, v[36:37], off offset:868
	v_lshrrev_b32_e32 v7, 16, v6
	s_wait_loadcnt 0x0
	v_lshrrev_b32_e32 v8, 16, v5
	s_delay_alu instid0(VALU_DEP_1) | instskip(SKIP_1) | instid1(VALU_DEP_2)
	v_mul_f16_e32 v9, v7, v8
	v_mul_f16_e32 v8, v6, v8
	v_fmac_f16_e32 v9, v6, v5
	s_delay_alu instid0(VALU_DEP_2) | instskip(NEXT) | instid1(VALU_DEP_2)
	v_fma_f16 v5, v5, v7, -v8
	v_cvt_f32_f16_e32 v6, v9
	s_delay_alu instid0(VALU_DEP_2) | instskip(NEXT) | instid1(VALU_DEP_2)
	v_cvt_f32_f16_e32 v7, v5
	v_cvt_f64_f32_e32 v[5:6], v6
	s_delay_alu instid0(VALU_DEP_2) | instskip(NEXT) | instid1(VALU_DEP_2)
	v_cvt_f64_f32_e32 v[7:8], v7
	v_mul_f64_e32 v[5:6], s[8:9], v[5:6]
	s_delay_alu instid0(VALU_DEP_2) | instskip(NEXT) | instid1(VALU_DEP_2)
	v_mul_f64_e32 v[7:8], s[8:9], v[7:8]
	v_and_or_b32 v5, 0x1ff, v6, v5
	s_delay_alu instid0(VALU_DEP_2)
	v_and_or_b32 v7, 0x1ff, v8, v7
	v_lshrrev_b32_e32 v9, 8, v6
	v_bfe_u32 v10, v6, 20, 11
	v_lshrrev_b32_e32 v11, 8, v8
	v_cmp_ne_u32_e32 vcc_lo, 0, v5
	v_bfe_u32 v12, v8, 20, 11
	v_lshrrev_b32_e32 v6, 16, v6
	v_sub_nc_u32_e32 v13, 0x3f1, v10
	v_add_nc_u32_e32 v10, 0xfffffc10, v10
	s_wait_alu 0xfffd
	v_cndmask_b32_e64 v5, 0, 1, vcc_lo
	v_cmp_ne_u32_e32 vcc_lo, 0, v7
	v_lshrrev_b32_e32 v8, 16, v8
	s_delay_alu instid0(VALU_DEP_3) | instskip(SKIP_4) | instid1(VALU_DEP_3)
	v_and_or_b32 v5, 0xffe, v9, v5
	s_wait_alu 0xfffd
	v_cndmask_b32_e64 v7, 0, 1, vcc_lo
	v_sub_nc_u32_e32 v9, 0x3f1, v12
	v_add_nc_u32_e32 v12, 0xfffffc10, v12
	v_and_or_b32 v7, 0xffe, v11, v7
	v_med3_i32 v11, v13, 0, 13
	v_or_b32_e32 v13, 0x1000, v5
	v_med3_i32 v9, v9, 0, 13
	s_delay_alu instid0(VALU_DEP_4) | instskip(NEXT) | instid1(VALU_DEP_3)
	v_or_b32_e32 v14, 0x1000, v7
	v_lshrrev_b32_e32 v15, v11, v13
	s_delay_alu instid0(VALU_DEP_2) | instskip(NEXT) | instid1(VALU_DEP_2)
	v_lshrrev_b32_e32 v16, v9, v14
	v_lshlrev_b32_e32 v11, v11, v15
	s_delay_alu instid0(VALU_DEP_2) | instskip(NEXT) | instid1(VALU_DEP_2)
	v_lshlrev_b32_e32 v9, v9, v16
	v_cmp_ne_u32_e32 vcc_lo, v11, v13
	v_lshl_or_b32 v13, v10, 12, v5
	s_wait_alu 0xfffd
	v_cndmask_b32_e64 v11, 0, 1, vcc_lo
	v_cmp_ne_u32_e32 vcc_lo, v9, v14
	v_lshl_or_b32 v14, v12, 12, v7
	s_delay_alu instid0(VALU_DEP_3) | instskip(SKIP_3) | instid1(VALU_DEP_2)
	v_or_b32_e32 v11, v15, v11
	s_wait_alu 0xfffd
	v_cndmask_b32_e64 v9, 0, 1, vcc_lo
	v_cmp_gt_i32_e32 vcc_lo, 1, v10
	v_or_b32_e32 v9, v16, v9
	s_wait_alu 0xfffd
	v_cndmask_b32_e32 v11, v13, v11, vcc_lo
	v_cmp_gt_i32_e32 vcc_lo, 1, v12
	s_delay_alu instid0(VALU_DEP_2)
	v_and_b32_e32 v13, 7, v11
	s_wait_alu 0xfffd
	v_cndmask_b32_e32 v9, v14, v9, vcc_lo
	v_cmp_ne_u32_e32 vcc_lo, 0, v5
	v_lshrrev_b32_e32 v11, 2, v11
	v_cmp_eq_u32_e64 s0, 3, v13
	s_delay_alu instid0(VALU_DEP_4)
	v_and_b32_e32 v14, 7, v9
	s_wait_alu 0xfffd
	v_cndmask_b32_e64 v5, 0, 1, vcc_lo
	v_cmp_ne_u32_e32 vcc_lo, 0, v7
	v_lshrrev_b32_e32 v9, 2, v9
	v_cmp_lt_i32_e64 s1, 5, v14
	v_cmp_eq_u32_e64 s2, 3, v14
	s_wait_alu 0xfffd
	v_cndmask_b32_e64 v7, 0, 1, vcc_lo
	v_cmp_lt_i32_e32 vcc_lo, 5, v13
	v_lshl_or_b32 v5, v5, 9, 0x7c00
	s_delay_alu instid0(VALU_DEP_3)
	v_lshl_or_b32 v7, v7, 9, 0x7c00
	s_or_b32 vcc_lo, s0, vcc_lo
	s_wait_alu 0xfffe
	v_add_co_ci_u32_e32 v11, vcc_lo, 0, v11, vcc_lo
	s_or_b32 vcc_lo, s2, s1
	s_wait_alu 0xfffe
	v_add_co_ci_u32_e32 v9, vcc_lo, 0, v9, vcc_lo
	v_cmp_gt_i32_e32 vcc_lo, 31, v10
	s_wait_alu 0xfffd
	v_cndmask_b32_e32 v11, 0x7c00, v11, vcc_lo
	v_cmp_gt_i32_e32 vcc_lo, 31, v12
	s_wait_alu 0xfffd
	v_cndmask_b32_e32 v9, 0x7c00, v9, vcc_lo
	v_cmp_eq_u32_e32 vcc_lo, 0x40f, v10
	s_wait_alu 0xfffd
	v_cndmask_b32_e32 v5, v11, v5, vcc_lo
	v_cmp_eq_u32_e32 vcc_lo, 0x40f, v12
	s_delay_alu instid0(VALU_DEP_2) | instskip(SKIP_2) | instid1(VALU_DEP_2)
	v_and_or_b32 v5, 0x8000, v6, v5
	s_wait_alu 0xfffd
	v_cndmask_b32_e32 v7, v9, v7, vcc_lo
	v_and_b32_e32 v5, 0xffff, v5
	s_delay_alu instid0(VALU_DEP_2) | instskip(NEXT) | instid1(VALU_DEP_1)
	v_and_or_b32 v6, 0x8000, v8, v7
	v_lshl_or_b32 v5, v6, 16, v5
	global_store_b32 v[0:1], v5, off
	global_load_b32 v6, v[36:37], off offset:968
	ds_load_2addr_b32 v[4:5], v4 offset0:114 offset1:139
	s_wait_dscnt 0x0
	v_lshrrev_b32_e32 v7, 16, v4
	s_wait_loadcnt 0x0
	v_lshrrev_b32_e32 v8, 16, v6
	s_delay_alu instid0(VALU_DEP_1) | instskip(SKIP_1) | instid1(VALU_DEP_2)
	v_mul_f16_e32 v9, v7, v8
	v_mul_f16_e32 v8, v4, v8
	v_fmac_f16_e32 v9, v4, v6
	s_delay_alu instid0(VALU_DEP_2) | instskip(NEXT) | instid1(VALU_DEP_2)
	v_fma_f16 v4, v6, v7, -v8
	v_cvt_f32_f16_e32 v6, v9
	s_delay_alu instid0(VALU_DEP_2) | instskip(NEXT) | instid1(VALU_DEP_2)
	v_cvt_f32_f16_e32 v4, v4
	v_cvt_f64_f32_e32 v[6:7], v6
	s_delay_alu instid0(VALU_DEP_2) | instskip(NEXT) | instid1(VALU_DEP_2)
	v_cvt_f64_f32_e32 v[8:9], v4
	v_mul_f64_e32 v[6:7], s[8:9], v[6:7]
	s_delay_alu instid0(VALU_DEP_2) | instskip(NEXT) | instid1(VALU_DEP_2)
	v_mul_f64_e32 v[8:9], s[8:9], v[8:9]
	v_and_or_b32 v4, 0x1ff, v7, v6
	s_delay_alu instid0(VALU_DEP_2)
	v_and_or_b32 v8, 0x1ff, v9, v8
	v_lshrrev_b32_e32 v6, 8, v7
	v_bfe_u32 v10, v7, 20, 11
	v_lshrrev_b32_e32 v11, 8, v9
	v_cmp_ne_u32_e32 vcc_lo, 0, v4
	v_bfe_u32 v12, v9, 20, 11
	v_lshrrev_b32_e32 v7, 16, v7
	v_sub_nc_u32_e32 v13, 0x3f1, v10
	v_add_nc_u32_e32 v10, 0xfffffc10, v10
	s_wait_alu 0xfffd
	v_cndmask_b32_e64 v4, 0, 1, vcc_lo
	v_cmp_ne_u32_e32 vcc_lo, 0, v8
	v_lshrrev_b32_e32 v9, 16, v9
	s_delay_alu instid0(VALU_DEP_3) | instskip(SKIP_4) | instid1(VALU_DEP_3)
	v_and_or_b32 v4, 0xffe, v6, v4
	s_wait_alu 0xfffd
	v_cndmask_b32_e64 v8, 0, 1, vcc_lo
	v_sub_nc_u32_e32 v6, 0x3f1, v12
	v_add_nc_u32_e32 v12, 0xfffffc10, v12
	v_and_or_b32 v8, 0xffe, v11, v8
	v_med3_i32 v11, v13, 0, 13
	v_or_b32_e32 v13, 0x1000, v4
	v_med3_i32 v6, v6, 0, 13
	s_delay_alu instid0(VALU_DEP_4) | instskip(NEXT) | instid1(VALU_DEP_3)
	v_or_b32_e32 v14, 0x1000, v8
	v_lshrrev_b32_e32 v15, v11, v13
	s_delay_alu instid0(VALU_DEP_2) | instskip(NEXT) | instid1(VALU_DEP_2)
	v_lshrrev_b32_e32 v16, v6, v14
	v_lshlrev_b32_e32 v11, v11, v15
	s_delay_alu instid0(VALU_DEP_2) | instskip(NEXT) | instid1(VALU_DEP_2)
	v_lshlrev_b32_e32 v6, v6, v16
	v_cmp_ne_u32_e32 vcc_lo, v11, v13
	v_lshl_or_b32 v13, v10, 12, v4
	s_wait_alu 0xfffd
	v_cndmask_b32_e64 v11, 0, 1, vcc_lo
	v_cmp_ne_u32_e32 vcc_lo, v6, v14
	v_lshl_or_b32 v14, v12, 12, v8
	s_delay_alu instid0(VALU_DEP_3) | instskip(SKIP_3) | instid1(VALU_DEP_2)
	v_or_b32_e32 v11, v15, v11
	s_wait_alu 0xfffd
	v_cndmask_b32_e64 v6, 0, 1, vcc_lo
	v_cmp_gt_i32_e32 vcc_lo, 1, v10
	v_or_b32_e32 v6, v16, v6
	s_wait_alu 0xfffd
	v_cndmask_b32_e32 v11, v13, v11, vcc_lo
	v_cmp_gt_i32_e32 vcc_lo, 1, v12
	s_wait_alu 0xfffd
	s_delay_alu instid0(VALU_DEP_2) | instskip(SKIP_2) | instid1(VALU_DEP_3)
	v_dual_cndmask_b32 v6, v14, v6 :: v_dual_and_b32 v13, 7, v11
	v_cmp_ne_u32_e32 vcc_lo, 0, v4
	v_lshrrev_b32_e32 v11, 2, v11
	v_cmp_eq_u32_e64 s0, 3, v13
	s_delay_alu instid0(VALU_DEP_4)
	v_and_b32_e32 v14, 7, v6
	s_wait_alu 0xfffd
	v_cndmask_b32_e64 v4, 0, 1, vcc_lo
	v_cmp_ne_u32_e32 vcc_lo, 0, v8
	v_lshrrev_b32_e32 v6, 2, v6
	v_cmp_lt_i32_e64 s1, 5, v14
	v_cmp_eq_u32_e64 s2, 3, v14
	s_wait_alu 0xfffd
	v_cndmask_b32_e64 v8, 0, 1, vcc_lo
	v_cmp_lt_i32_e32 vcc_lo, 5, v13
	v_lshl_or_b32 v4, v4, 9, 0x7c00
	s_delay_alu instid0(VALU_DEP_3)
	v_lshl_or_b32 v8, v8, 9, 0x7c00
	s_or_b32 vcc_lo, s0, vcc_lo
	s_wait_alu 0xfffe
	v_add_co_ci_u32_e32 v11, vcc_lo, 0, v11, vcc_lo
	s_or_b32 vcc_lo, s2, s1
	s_wait_alu 0xfffe
	v_add_co_ci_u32_e32 v6, vcc_lo, 0, v6, vcc_lo
	v_cmp_gt_i32_e32 vcc_lo, 31, v10
	s_wait_alu 0xfffd
	v_cndmask_b32_e32 v11, 0x7c00, v11, vcc_lo
	v_cmp_gt_i32_e32 vcc_lo, 31, v12
	s_wait_alu 0xfffd
	v_cndmask_b32_e32 v6, 0x7c00, v6, vcc_lo
	v_cmp_eq_u32_e32 vcc_lo, 0x40f, v10
	s_wait_alu 0xfffd
	v_cndmask_b32_e32 v4, v11, v4, vcc_lo
	v_cmp_eq_u32_e32 vcc_lo, 0x40f, v12
	s_delay_alu instid0(VALU_DEP_2)
	v_and_or_b32 v4, 0x8000, v7, v4
	s_wait_alu 0xfffd
	v_cndmask_b32_e32 v6, v6, v8, vcc_lo
	v_add_co_u32 v0, vcc_lo, v0, s6
	s_wait_alu 0xfffd
	v_add_co_ci_u32_e32 v1, vcc_lo, s7, v1, vcc_lo
	s_delay_alu instid0(VALU_DEP_3) | instskip(SKIP_1) | instid1(VALU_DEP_1)
	v_and_or_b32 v6, 0x8000, v9, v6
	v_and_b32_e32 v4, 0xffff, v4
	v_lshl_or_b32 v4, v6, 16, v4
	v_lshrrev_b32_e32 v6, 16, v5
	global_store_b32 v[0:1], v4, off
	global_load_b32 v4, v[36:37], off offset:1068
	s_wait_loadcnt 0x0
	v_lshrrev_b32_e32 v7, 16, v4
	s_delay_alu instid0(VALU_DEP_1) | instskip(SKIP_1) | instid1(VALU_DEP_2)
	v_mul_f16_e32 v8, v6, v7
	v_mul_f16_e32 v7, v5, v7
	v_fmac_f16_e32 v8, v5, v4
	s_delay_alu instid0(VALU_DEP_2) | instskip(NEXT) | instid1(VALU_DEP_2)
	v_fma_f16 v4, v4, v6, -v7
	v_cvt_f32_f16_e32 v5, v8
	s_delay_alu instid0(VALU_DEP_2) | instskip(NEXT) | instid1(VALU_DEP_2)
	v_cvt_f32_f16_e32 v6, v4
	v_cvt_f64_f32_e32 v[4:5], v5
	s_delay_alu instid0(VALU_DEP_2) | instskip(NEXT) | instid1(VALU_DEP_2)
	v_cvt_f64_f32_e32 v[6:7], v6
	v_mul_f64_e32 v[4:5], s[8:9], v[4:5]
	s_delay_alu instid0(VALU_DEP_2) | instskip(NEXT) | instid1(VALU_DEP_2)
	v_mul_f64_e32 v[6:7], s[8:9], v[6:7]
	v_and_or_b32 v4, 0x1ff, v5, v4
	s_delay_alu instid0(VALU_DEP_2)
	v_and_or_b32 v6, 0x1ff, v7, v6
	v_lshrrev_b32_e32 v8, 8, v5
	v_bfe_u32 v9, v5, 20, 11
	v_lshrrev_b32_e32 v10, 8, v7
	v_cmp_ne_u32_e32 vcc_lo, 0, v4
	v_bfe_u32 v11, v7, 20, 11
	v_lshrrev_b32_e32 v5, 16, v5
	v_sub_nc_u32_e32 v12, 0x3f1, v9
	v_add_nc_u32_e32 v9, 0xfffffc10, v9
	s_wait_alu 0xfffd
	v_cndmask_b32_e64 v4, 0, 1, vcc_lo
	v_cmp_ne_u32_e32 vcc_lo, 0, v6
	v_lshrrev_b32_e32 v7, 16, v7
	s_delay_alu instid0(VALU_DEP_3) | instskip(SKIP_4) | instid1(VALU_DEP_3)
	v_and_or_b32 v4, 0xffe, v8, v4
	s_wait_alu 0xfffd
	v_cndmask_b32_e64 v6, 0, 1, vcc_lo
	v_sub_nc_u32_e32 v8, 0x3f1, v11
	v_add_nc_u32_e32 v11, 0xfffffc10, v11
	v_and_or_b32 v6, 0xffe, v10, v6
	v_med3_i32 v10, v12, 0, 13
	v_or_b32_e32 v12, 0x1000, v4
	v_med3_i32 v8, v8, 0, 13
	s_delay_alu instid0(VALU_DEP_4) | instskip(NEXT) | instid1(VALU_DEP_3)
	v_or_b32_e32 v13, 0x1000, v6
	v_lshrrev_b32_e32 v14, v10, v12
	s_delay_alu instid0(VALU_DEP_2) | instskip(NEXT) | instid1(VALU_DEP_2)
	v_lshrrev_b32_e32 v15, v8, v13
	v_lshlrev_b32_e32 v10, v10, v14
	s_delay_alu instid0(VALU_DEP_2) | instskip(NEXT) | instid1(VALU_DEP_2)
	v_lshlrev_b32_e32 v8, v8, v15
	v_cmp_ne_u32_e32 vcc_lo, v10, v12
	v_lshl_or_b32 v12, v9, 12, v4
	s_wait_alu 0xfffd
	v_cndmask_b32_e64 v10, 0, 1, vcc_lo
	v_cmp_ne_u32_e32 vcc_lo, v8, v13
	v_lshl_or_b32 v13, v11, 12, v6
	s_delay_alu instid0(VALU_DEP_3) | instskip(SKIP_3) | instid1(VALU_DEP_2)
	v_or_b32_e32 v10, v14, v10
	s_wait_alu 0xfffd
	v_cndmask_b32_e64 v8, 0, 1, vcc_lo
	v_cmp_gt_i32_e32 vcc_lo, 1, v9
	v_or_b32_e32 v8, v15, v8
	s_wait_alu 0xfffd
	v_cndmask_b32_e32 v10, v12, v10, vcc_lo
	v_cmp_gt_i32_e32 vcc_lo, 1, v11
	s_delay_alu instid0(VALU_DEP_2)
	v_and_b32_e32 v12, 7, v10
	s_wait_alu 0xfffd
	v_cndmask_b32_e32 v8, v13, v8, vcc_lo
	v_cmp_ne_u32_e32 vcc_lo, 0, v4
	v_lshrrev_b32_e32 v10, 2, v10
	v_cmp_eq_u32_e64 s0, 3, v12
	s_delay_alu instid0(VALU_DEP_4)
	v_and_b32_e32 v13, 7, v8
	s_wait_alu 0xfffd
	v_cndmask_b32_e64 v4, 0, 1, vcc_lo
	v_cmp_ne_u32_e32 vcc_lo, 0, v6
	v_lshrrev_b32_e32 v8, 2, v8
	v_cmp_lt_i32_e64 s1, 5, v13
	v_cmp_eq_u32_e64 s2, 3, v13
	s_wait_alu 0xfffd
	v_cndmask_b32_e64 v6, 0, 1, vcc_lo
	v_cmp_lt_i32_e32 vcc_lo, 5, v12
	v_lshl_or_b32 v4, v4, 9, 0x7c00
	s_delay_alu instid0(VALU_DEP_3)
	v_lshl_or_b32 v6, v6, 9, 0x7c00
	s_or_b32 vcc_lo, s0, vcc_lo
	s_wait_alu 0xfffe
	v_add_co_ci_u32_e32 v10, vcc_lo, 0, v10, vcc_lo
	s_or_b32 vcc_lo, s2, s1
	s_wait_alu 0xfffe
	v_add_co_ci_u32_e32 v8, vcc_lo, 0, v8, vcc_lo
	v_cmp_gt_i32_e32 vcc_lo, 31, v9
	s_wait_alu 0xfffd
	v_cndmask_b32_e32 v10, 0x7c00, v10, vcc_lo
	v_cmp_gt_i32_e32 vcc_lo, 31, v11
	s_wait_alu 0xfffd
	v_cndmask_b32_e32 v8, 0x7c00, v8, vcc_lo
	v_cmp_eq_u32_e32 vcc_lo, 0x40f, v9
	s_wait_alu 0xfffd
	v_cndmask_b32_e32 v4, v10, v4, vcc_lo
	v_cmp_eq_u32_e32 vcc_lo, 0x40f, v11
	s_delay_alu instid0(VALU_DEP_2)
	v_and_or_b32 v4, 0x8000, v5, v4
	s_wait_alu 0xfffd
	v_cndmask_b32_e32 v6, v8, v6, vcc_lo
	v_add_co_u32 v0, vcc_lo, v0, s6
	s_wait_alu 0xfffd
	v_add_co_ci_u32_e32 v1, vcc_lo, s7, v1, vcc_lo
	s_delay_alu instid0(VALU_DEP_3) | instskip(SKIP_1) | instid1(VALU_DEP_1)
	v_and_or_b32 v5, 0x8000, v7, v6
	v_and_b32_e32 v4, 0xffff, v4
	v_lshl_or_b32 v4, v5, 16, v4
	global_store_b32 v[0:1], v4, off
	global_load_b32 v6, v[36:37], off offset:1168
	ds_load_2addr_b32 v[4:5], v45 offset0:36 offset1:61
	s_wait_dscnt 0x0
	v_lshrrev_b32_e32 v7, 16, v4
	s_wait_loadcnt 0x0
	v_lshrrev_b32_e32 v8, 16, v6
	s_delay_alu instid0(VALU_DEP_1) | instskip(SKIP_1) | instid1(VALU_DEP_2)
	v_mul_f16_e32 v9, v7, v8
	v_mul_f16_e32 v8, v4, v8
	v_fmac_f16_e32 v9, v4, v6
	s_delay_alu instid0(VALU_DEP_2) | instskip(NEXT) | instid1(VALU_DEP_2)
	v_fma_f16 v4, v6, v7, -v8
	v_cvt_f32_f16_e32 v6, v9
	s_delay_alu instid0(VALU_DEP_2) | instskip(NEXT) | instid1(VALU_DEP_2)
	v_cvt_f32_f16_e32 v4, v4
	v_cvt_f64_f32_e32 v[6:7], v6
	s_delay_alu instid0(VALU_DEP_2) | instskip(NEXT) | instid1(VALU_DEP_2)
	v_cvt_f64_f32_e32 v[8:9], v4
	v_mul_f64_e32 v[6:7], s[8:9], v[6:7]
	s_delay_alu instid0(VALU_DEP_2) | instskip(NEXT) | instid1(VALU_DEP_2)
	v_mul_f64_e32 v[8:9], s[8:9], v[8:9]
	v_and_or_b32 v4, 0x1ff, v7, v6
	s_delay_alu instid0(VALU_DEP_2)
	v_and_or_b32 v8, 0x1ff, v9, v8
	v_lshrrev_b32_e32 v6, 8, v7
	v_bfe_u32 v10, v7, 20, 11
	v_lshrrev_b32_e32 v11, 8, v9
	v_cmp_ne_u32_e32 vcc_lo, 0, v4
	v_bfe_u32 v12, v9, 20, 11
	v_lshrrev_b32_e32 v7, 16, v7
	v_sub_nc_u32_e32 v13, 0x3f1, v10
	v_add_nc_u32_e32 v10, 0xfffffc10, v10
	s_wait_alu 0xfffd
	v_cndmask_b32_e64 v4, 0, 1, vcc_lo
	v_cmp_ne_u32_e32 vcc_lo, 0, v8
	v_lshrrev_b32_e32 v9, 16, v9
	s_delay_alu instid0(VALU_DEP_3) | instskip(SKIP_4) | instid1(VALU_DEP_3)
	v_and_or_b32 v4, 0xffe, v6, v4
	s_wait_alu 0xfffd
	v_cndmask_b32_e64 v8, 0, 1, vcc_lo
	v_sub_nc_u32_e32 v6, 0x3f1, v12
	v_add_nc_u32_e32 v12, 0xfffffc10, v12
	v_and_or_b32 v8, 0xffe, v11, v8
	v_med3_i32 v11, v13, 0, 13
	v_or_b32_e32 v13, 0x1000, v4
	v_med3_i32 v6, v6, 0, 13
	s_delay_alu instid0(VALU_DEP_4) | instskip(NEXT) | instid1(VALU_DEP_3)
	v_or_b32_e32 v14, 0x1000, v8
	v_lshrrev_b32_e32 v15, v11, v13
	s_delay_alu instid0(VALU_DEP_2) | instskip(NEXT) | instid1(VALU_DEP_2)
	v_lshrrev_b32_e32 v16, v6, v14
	v_lshlrev_b32_e32 v11, v11, v15
	s_delay_alu instid0(VALU_DEP_2) | instskip(NEXT) | instid1(VALU_DEP_2)
	v_lshlrev_b32_e32 v6, v6, v16
	v_cmp_ne_u32_e32 vcc_lo, v11, v13
	v_lshl_or_b32 v13, v10, 12, v4
	s_wait_alu 0xfffd
	v_cndmask_b32_e64 v11, 0, 1, vcc_lo
	v_cmp_ne_u32_e32 vcc_lo, v6, v14
	v_lshl_or_b32 v14, v12, 12, v8
	s_delay_alu instid0(VALU_DEP_3) | instskip(SKIP_3) | instid1(VALU_DEP_2)
	v_or_b32_e32 v11, v15, v11
	s_wait_alu 0xfffd
	v_cndmask_b32_e64 v6, 0, 1, vcc_lo
	v_cmp_gt_i32_e32 vcc_lo, 1, v10
	v_or_b32_e32 v6, v16, v6
	s_wait_alu 0xfffd
	v_cndmask_b32_e32 v11, v13, v11, vcc_lo
	v_cmp_gt_i32_e32 vcc_lo, 1, v12
	s_wait_alu 0xfffd
	s_delay_alu instid0(VALU_DEP_2) | instskip(SKIP_2) | instid1(VALU_DEP_3)
	v_dual_cndmask_b32 v6, v14, v6 :: v_dual_and_b32 v13, 7, v11
	v_cmp_ne_u32_e32 vcc_lo, 0, v4
	v_lshrrev_b32_e32 v11, 2, v11
	v_cmp_eq_u32_e64 s0, 3, v13
	s_delay_alu instid0(VALU_DEP_4)
	v_and_b32_e32 v14, 7, v6
	s_wait_alu 0xfffd
	v_cndmask_b32_e64 v4, 0, 1, vcc_lo
	v_cmp_ne_u32_e32 vcc_lo, 0, v8
	v_lshrrev_b32_e32 v6, 2, v6
	v_cmp_lt_i32_e64 s1, 5, v14
	v_cmp_eq_u32_e64 s2, 3, v14
	s_wait_alu 0xfffd
	v_cndmask_b32_e64 v8, 0, 1, vcc_lo
	v_cmp_lt_i32_e32 vcc_lo, 5, v13
	v_lshl_or_b32 v4, v4, 9, 0x7c00
	s_delay_alu instid0(VALU_DEP_3)
	v_lshl_or_b32 v8, v8, 9, 0x7c00
	s_or_b32 vcc_lo, s0, vcc_lo
	s_wait_alu 0xfffe
	v_add_co_ci_u32_e32 v11, vcc_lo, 0, v11, vcc_lo
	s_or_b32 vcc_lo, s2, s1
	s_wait_alu 0xfffe
	v_add_co_ci_u32_e32 v6, vcc_lo, 0, v6, vcc_lo
	v_cmp_gt_i32_e32 vcc_lo, 31, v10
	s_wait_alu 0xfffd
	v_cndmask_b32_e32 v11, 0x7c00, v11, vcc_lo
	v_cmp_gt_i32_e32 vcc_lo, 31, v12
	s_wait_alu 0xfffd
	v_cndmask_b32_e32 v6, 0x7c00, v6, vcc_lo
	v_cmp_eq_u32_e32 vcc_lo, 0x40f, v10
	s_wait_alu 0xfffd
	v_cndmask_b32_e32 v4, v11, v4, vcc_lo
	v_cmp_eq_u32_e32 vcc_lo, 0x40f, v12
	s_delay_alu instid0(VALU_DEP_2)
	v_and_or_b32 v4, 0x8000, v7, v4
	s_wait_alu 0xfffd
	v_cndmask_b32_e32 v6, v6, v8, vcc_lo
	v_add_co_u32 v0, vcc_lo, v0, s6
	s_wait_alu 0xfffd
	v_add_co_ci_u32_e32 v1, vcc_lo, s7, v1, vcc_lo
	s_delay_alu instid0(VALU_DEP_3) | instskip(SKIP_1) | instid1(VALU_DEP_1)
	v_and_or_b32 v6, 0x8000, v9, v6
	v_and_b32_e32 v4, 0xffff, v4
	v_lshl_or_b32 v4, v6, 16, v4
	v_lshrrev_b32_e32 v6, 16, v5
	global_store_b32 v[0:1], v4, off
	global_load_b32 v4, v[36:37], off offset:1268
	s_wait_loadcnt 0x0
	v_lshrrev_b32_e32 v7, 16, v4
	s_delay_alu instid0(VALU_DEP_1) | instskip(SKIP_1) | instid1(VALU_DEP_2)
	v_mul_f16_e32 v8, v6, v7
	v_mul_f16_e32 v7, v5, v7
	v_fmac_f16_e32 v8, v5, v4
	s_delay_alu instid0(VALU_DEP_2) | instskip(NEXT) | instid1(VALU_DEP_2)
	v_fma_f16 v4, v4, v6, -v7
	v_cvt_f32_f16_e32 v5, v8
	s_delay_alu instid0(VALU_DEP_2) | instskip(NEXT) | instid1(VALU_DEP_2)
	v_cvt_f32_f16_e32 v6, v4
	v_cvt_f64_f32_e32 v[4:5], v5
	s_delay_alu instid0(VALU_DEP_2) | instskip(NEXT) | instid1(VALU_DEP_2)
	v_cvt_f64_f32_e32 v[6:7], v6
	v_mul_f64_e32 v[4:5], s[8:9], v[4:5]
	s_delay_alu instid0(VALU_DEP_2) | instskip(NEXT) | instid1(VALU_DEP_2)
	v_mul_f64_e32 v[6:7], s[8:9], v[6:7]
	v_and_or_b32 v4, 0x1ff, v5, v4
	s_delay_alu instid0(VALU_DEP_2)
	v_and_or_b32 v6, 0x1ff, v7, v6
	v_lshrrev_b32_e32 v8, 8, v5
	v_bfe_u32 v9, v5, 20, 11
	v_lshrrev_b32_e32 v10, 8, v7
	v_cmp_ne_u32_e32 vcc_lo, 0, v4
	v_bfe_u32 v11, v7, 20, 11
	v_lshrrev_b32_e32 v5, 16, v5
	v_sub_nc_u32_e32 v12, 0x3f1, v9
	v_add_nc_u32_e32 v9, 0xfffffc10, v9
	s_wait_alu 0xfffd
	v_cndmask_b32_e64 v4, 0, 1, vcc_lo
	v_cmp_ne_u32_e32 vcc_lo, 0, v6
	v_lshrrev_b32_e32 v7, 16, v7
	s_delay_alu instid0(VALU_DEP_3) | instskip(SKIP_4) | instid1(VALU_DEP_3)
	v_and_or_b32 v4, 0xffe, v8, v4
	s_wait_alu 0xfffd
	v_cndmask_b32_e64 v6, 0, 1, vcc_lo
	v_sub_nc_u32_e32 v8, 0x3f1, v11
	v_add_nc_u32_e32 v11, 0xfffffc10, v11
	v_and_or_b32 v6, 0xffe, v10, v6
	v_med3_i32 v10, v12, 0, 13
	v_or_b32_e32 v12, 0x1000, v4
	v_med3_i32 v8, v8, 0, 13
	s_delay_alu instid0(VALU_DEP_4) | instskip(NEXT) | instid1(VALU_DEP_3)
	v_or_b32_e32 v13, 0x1000, v6
	v_lshrrev_b32_e32 v14, v10, v12
	s_delay_alu instid0(VALU_DEP_2) | instskip(NEXT) | instid1(VALU_DEP_2)
	v_lshrrev_b32_e32 v15, v8, v13
	v_lshlrev_b32_e32 v10, v10, v14
	s_delay_alu instid0(VALU_DEP_2) | instskip(NEXT) | instid1(VALU_DEP_2)
	v_lshlrev_b32_e32 v8, v8, v15
	v_cmp_ne_u32_e32 vcc_lo, v10, v12
	v_lshl_or_b32 v12, v9, 12, v4
	s_wait_alu 0xfffd
	v_cndmask_b32_e64 v10, 0, 1, vcc_lo
	v_cmp_ne_u32_e32 vcc_lo, v8, v13
	v_lshl_or_b32 v13, v11, 12, v6
	s_delay_alu instid0(VALU_DEP_3) | instskip(SKIP_3) | instid1(VALU_DEP_2)
	v_or_b32_e32 v10, v14, v10
	s_wait_alu 0xfffd
	v_cndmask_b32_e64 v8, 0, 1, vcc_lo
	v_cmp_gt_i32_e32 vcc_lo, 1, v9
	v_or_b32_e32 v8, v15, v8
	s_wait_alu 0xfffd
	v_cndmask_b32_e32 v10, v12, v10, vcc_lo
	v_cmp_gt_i32_e32 vcc_lo, 1, v11
	s_delay_alu instid0(VALU_DEP_2)
	v_and_b32_e32 v12, 7, v10
	s_wait_alu 0xfffd
	v_cndmask_b32_e32 v8, v13, v8, vcc_lo
	v_cmp_ne_u32_e32 vcc_lo, 0, v4
	v_lshrrev_b32_e32 v10, 2, v10
	v_cmp_eq_u32_e64 s0, 3, v12
	s_delay_alu instid0(VALU_DEP_4)
	v_and_b32_e32 v13, 7, v8
	s_wait_alu 0xfffd
	v_cndmask_b32_e64 v4, 0, 1, vcc_lo
	v_cmp_ne_u32_e32 vcc_lo, 0, v6
	v_lshrrev_b32_e32 v8, 2, v8
	v_cmp_lt_i32_e64 s1, 5, v13
	v_cmp_eq_u32_e64 s2, 3, v13
	s_wait_alu 0xfffd
	v_cndmask_b32_e64 v6, 0, 1, vcc_lo
	v_cmp_lt_i32_e32 vcc_lo, 5, v12
	v_lshl_or_b32 v4, v4, 9, 0x7c00
	s_delay_alu instid0(VALU_DEP_3)
	v_lshl_or_b32 v6, v6, 9, 0x7c00
	s_or_b32 vcc_lo, s0, vcc_lo
	s_wait_alu 0xfffe
	v_add_co_ci_u32_e32 v10, vcc_lo, 0, v10, vcc_lo
	s_or_b32 vcc_lo, s2, s1
	s_wait_alu 0xfffe
	v_add_co_ci_u32_e32 v8, vcc_lo, 0, v8, vcc_lo
	v_cmp_gt_i32_e32 vcc_lo, 31, v9
	s_wait_alu 0xfffd
	v_cndmask_b32_e32 v10, 0x7c00, v10, vcc_lo
	v_cmp_gt_i32_e32 vcc_lo, 31, v11
	s_wait_alu 0xfffd
	v_cndmask_b32_e32 v8, 0x7c00, v8, vcc_lo
	v_cmp_eq_u32_e32 vcc_lo, 0x40f, v9
	s_wait_alu 0xfffd
	v_cndmask_b32_e32 v4, v10, v4, vcc_lo
	v_cmp_eq_u32_e32 vcc_lo, 0x40f, v11
	s_delay_alu instid0(VALU_DEP_2)
	v_and_or_b32 v4, 0x8000, v5, v4
	s_wait_alu 0xfffd
	v_cndmask_b32_e32 v6, v8, v6, vcc_lo
	v_add_co_u32 v0, vcc_lo, v0, s6
	s_wait_alu 0xfffd
	v_add_co_ci_u32_e32 v1, vcc_lo, s7, v1, vcc_lo
	s_delay_alu instid0(VALU_DEP_3) | instskip(SKIP_1) | instid1(VALU_DEP_1)
	v_and_or_b32 v5, 0x8000, v7, v6
	v_and_b32_e32 v4, 0xffff, v4
	v_lshl_or_b32 v4, v5, 16, v4
	global_store_b32 v[0:1], v4, off
	global_load_b32 v6, v[36:37], off offset:1368
	ds_load_2addr_b32 v[4:5], v45 offset0:86 offset1:111
	s_wait_dscnt 0x0
	v_lshrrev_b32_e32 v7, 16, v4
	s_wait_loadcnt 0x0
	v_lshrrev_b32_e32 v8, 16, v6
	s_delay_alu instid0(VALU_DEP_1) | instskip(SKIP_1) | instid1(VALU_DEP_2)
	v_mul_f16_e32 v9, v7, v8
	v_mul_f16_e32 v8, v4, v8
	v_fmac_f16_e32 v9, v4, v6
	s_delay_alu instid0(VALU_DEP_2) | instskip(NEXT) | instid1(VALU_DEP_2)
	v_fma_f16 v4, v6, v7, -v8
	v_cvt_f32_f16_e32 v6, v9
	s_delay_alu instid0(VALU_DEP_2) | instskip(NEXT) | instid1(VALU_DEP_2)
	v_cvt_f32_f16_e32 v4, v4
	v_cvt_f64_f32_e32 v[6:7], v6
	s_delay_alu instid0(VALU_DEP_2) | instskip(NEXT) | instid1(VALU_DEP_2)
	v_cvt_f64_f32_e32 v[8:9], v4
	v_mul_f64_e32 v[6:7], s[8:9], v[6:7]
	s_delay_alu instid0(VALU_DEP_2) | instskip(NEXT) | instid1(VALU_DEP_2)
	v_mul_f64_e32 v[8:9], s[8:9], v[8:9]
	v_and_or_b32 v4, 0x1ff, v7, v6
	s_delay_alu instid0(VALU_DEP_2)
	v_and_or_b32 v8, 0x1ff, v9, v8
	v_lshrrev_b32_e32 v6, 8, v7
	v_bfe_u32 v10, v7, 20, 11
	v_lshrrev_b32_e32 v11, 8, v9
	v_cmp_ne_u32_e32 vcc_lo, 0, v4
	v_bfe_u32 v12, v9, 20, 11
	v_lshrrev_b32_e32 v7, 16, v7
	v_sub_nc_u32_e32 v13, 0x3f1, v10
	v_add_nc_u32_e32 v10, 0xfffffc10, v10
	s_wait_alu 0xfffd
	v_cndmask_b32_e64 v4, 0, 1, vcc_lo
	v_cmp_ne_u32_e32 vcc_lo, 0, v8
	v_lshrrev_b32_e32 v9, 16, v9
	s_delay_alu instid0(VALU_DEP_3) | instskip(SKIP_4) | instid1(VALU_DEP_3)
	v_and_or_b32 v4, 0xffe, v6, v4
	s_wait_alu 0xfffd
	v_cndmask_b32_e64 v8, 0, 1, vcc_lo
	v_sub_nc_u32_e32 v6, 0x3f1, v12
	v_add_nc_u32_e32 v12, 0xfffffc10, v12
	v_and_or_b32 v8, 0xffe, v11, v8
	v_med3_i32 v11, v13, 0, 13
	v_or_b32_e32 v13, 0x1000, v4
	v_med3_i32 v6, v6, 0, 13
	s_delay_alu instid0(VALU_DEP_4) | instskip(NEXT) | instid1(VALU_DEP_3)
	v_or_b32_e32 v14, 0x1000, v8
	v_lshrrev_b32_e32 v15, v11, v13
	s_delay_alu instid0(VALU_DEP_2) | instskip(NEXT) | instid1(VALU_DEP_2)
	v_lshrrev_b32_e32 v16, v6, v14
	v_lshlrev_b32_e32 v11, v11, v15
	s_delay_alu instid0(VALU_DEP_2) | instskip(NEXT) | instid1(VALU_DEP_2)
	v_lshlrev_b32_e32 v6, v6, v16
	v_cmp_ne_u32_e32 vcc_lo, v11, v13
	v_lshl_or_b32 v13, v10, 12, v4
	s_wait_alu 0xfffd
	v_cndmask_b32_e64 v11, 0, 1, vcc_lo
	v_cmp_ne_u32_e32 vcc_lo, v6, v14
	v_lshl_or_b32 v14, v12, 12, v8
	s_delay_alu instid0(VALU_DEP_3) | instskip(SKIP_3) | instid1(VALU_DEP_2)
	v_or_b32_e32 v11, v15, v11
	s_wait_alu 0xfffd
	v_cndmask_b32_e64 v6, 0, 1, vcc_lo
	v_cmp_gt_i32_e32 vcc_lo, 1, v10
	v_or_b32_e32 v6, v16, v6
	s_wait_alu 0xfffd
	v_cndmask_b32_e32 v11, v13, v11, vcc_lo
	v_cmp_gt_i32_e32 vcc_lo, 1, v12
	s_wait_alu 0xfffd
	s_delay_alu instid0(VALU_DEP_2) | instskip(SKIP_2) | instid1(VALU_DEP_3)
	v_dual_cndmask_b32 v6, v14, v6 :: v_dual_and_b32 v13, 7, v11
	v_cmp_ne_u32_e32 vcc_lo, 0, v4
	v_lshrrev_b32_e32 v11, 2, v11
	v_cmp_eq_u32_e64 s0, 3, v13
	s_delay_alu instid0(VALU_DEP_4)
	v_and_b32_e32 v14, 7, v6
	s_wait_alu 0xfffd
	v_cndmask_b32_e64 v4, 0, 1, vcc_lo
	v_cmp_ne_u32_e32 vcc_lo, 0, v8
	v_lshrrev_b32_e32 v6, 2, v6
	v_cmp_lt_i32_e64 s1, 5, v14
	v_cmp_eq_u32_e64 s2, 3, v14
	s_wait_alu 0xfffd
	v_cndmask_b32_e64 v8, 0, 1, vcc_lo
	v_cmp_lt_i32_e32 vcc_lo, 5, v13
	v_lshl_or_b32 v4, v4, 9, 0x7c00
	s_delay_alu instid0(VALU_DEP_3)
	v_lshl_or_b32 v8, v8, 9, 0x7c00
	s_or_b32 vcc_lo, s0, vcc_lo
	s_wait_alu 0xfffe
	v_add_co_ci_u32_e32 v11, vcc_lo, 0, v11, vcc_lo
	s_or_b32 vcc_lo, s2, s1
	s_wait_alu 0xfffe
	v_add_co_ci_u32_e32 v6, vcc_lo, 0, v6, vcc_lo
	v_cmp_gt_i32_e32 vcc_lo, 31, v10
	s_wait_alu 0xfffd
	v_cndmask_b32_e32 v11, 0x7c00, v11, vcc_lo
	v_cmp_gt_i32_e32 vcc_lo, 31, v12
	s_wait_alu 0xfffd
	v_cndmask_b32_e32 v6, 0x7c00, v6, vcc_lo
	v_cmp_eq_u32_e32 vcc_lo, 0x40f, v10
	s_wait_alu 0xfffd
	v_cndmask_b32_e32 v4, v11, v4, vcc_lo
	v_cmp_eq_u32_e32 vcc_lo, 0x40f, v12
	s_delay_alu instid0(VALU_DEP_2)
	v_and_or_b32 v4, 0x8000, v7, v4
	s_wait_alu 0xfffd
	v_cndmask_b32_e32 v6, v6, v8, vcc_lo
	v_add_co_u32 v0, vcc_lo, v0, s6
	s_wait_alu 0xfffd
	v_add_co_ci_u32_e32 v1, vcc_lo, s7, v1, vcc_lo
	s_delay_alu instid0(VALU_DEP_3) | instskip(SKIP_1) | instid1(VALU_DEP_1)
	v_and_or_b32 v6, 0x8000, v9, v6
	v_and_b32_e32 v4, 0xffff, v4
	v_lshl_or_b32 v4, v6, 16, v4
	v_lshrrev_b32_e32 v6, 16, v5
	global_store_b32 v[0:1], v4, off
	global_load_b32 v4, v[36:37], off offset:1468
	s_wait_loadcnt 0x0
	v_lshrrev_b32_e32 v7, 16, v4
	s_delay_alu instid0(VALU_DEP_1) | instskip(SKIP_1) | instid1(VALU_DEP_2)
	v_mul_f16_e32 v8, v6, v7
	v_mul_f16_e32 v7, v5, v7
	v_fmac_f16_e32 v8, v5, v4
	s_delay_alu instid0(VALU_DEP_2) | instskip(NEXT) | instid1(VALU_DEP_2)
	v_fma_f16 v4, v4, v6, -v7
	v_cvt_f32_f16_e32 v5, v8
	s_delay_alu instid0(VALU_DEP_2) | instskip(NEXT) | instid1(VALU_DEP_2)
	v_cvt_f32_f16_e32 v6, v4
	v_cvt_f64_f32_e32 v[4:5], v5
	s_delay_alu instid0(VALU_DEP_2) | instskip(NEXT) | instid1(VALU_DEP_2)
	v_cvt_f64_f32_e32 v[6:7], v6
	v_mul_f64_e32 v[4:5], s[8:9], v[4:5]
	s_delay_alu instid0(VALU_DEP_2) | instskip(NEXT) | instid1(VALU_DEP_2)
	v_mul_f64_e32 v[6:7], s[8:9], v[6:7]
	v_and_or_b32 v4, 0x1ff, v5, v4
	s_delay_alu instid0(VALU_DEP_2)
	v_and_or_b32 v6, 0x1ff, v7, v6
	v_lshrrev_b32_e32 v8, 8, v5
	v_bfe_u32 v9, v5, 20, 11
	v_lshrrev_b32_e32 v10, 8, v7
	v_cmp_ne_u32_e32 vcc_lo, 0, v4
	v_bfe_u32 v11, v7, 20, 11
	v_lshrrev_b32_e32 v5, 16, v5
	v_sub_nc_u32_e32 v12, 0x3f1, v9
	v_add_nc_u32_e32 v9, 0xfffffc10, v9
	s_wait_alu 0xfffd
	v_cndmask_b32_e64 v4, 0, 1, vcc_lo
	v_cmp_ne_u32_e32 vcc_lo, 0, v6
	v_lshrrev_b32_e32 v7, 16, v7
	s_delay_alu instid0(VALU_DEP_3) | instskip(SKIP_4) | instid1(VALU_DEP_3)
	v_and_or_b32 v4, 0xffe, v8, v4
	s_wait_alu 0xfffd
	v_cndmask_b32_e64 v6, 0, 1, vcc_lo
	v_sub_nc_u32_e32 v8, 0x3f1, v11
	v_add_nc_u32_e32 v11, 0xfffffc10, v11
	v_and_or_b32 v6, 0xffe, v10, v6
	v_med3_i32 v10, v12, 0, 13
	v_or_b32_e32 v12, 0x1000, v4
	v_med3_i32 v8, v8, 0, 13
	s_delay_alu instid0(VALU_DEP_4) | instskip(NEXT) | instid1(VALU_DEP_3)
	v_or_b32_e32 v13, 0x1000, v6
	v_lshrrev_b32_e32 v14, v10, v12
	s_delay_alu instid0(VALU_DEP_2) | instskip(NEXT) | instid1(VALU_DEP_2)
	v_lshrrev_b32_e32 v15, v8, v13
	v_lshlrev_b32_e32 v10, v10, v14
	s_delay_alu instid0(VALU_DEP_2) | instskip(NEXT) | instid1(VALU_DEP_2)
	v_lshlrev_b32_e32 v8, v8, v15
	v_cmp_ne_u32_e32 vcc_lo, v10, v12
	v_lshl_or_b32 v12, v9, 12, v4
	s_wait_alu 0xfffd
	v_cndmask_b32_e64 v10, 0, 1, vcc_lo
	v_cmp_ne_u32_e32 vcc_lo, v8, v13
	v_lshl_or_b32 v13, v11, 12, v6
	s_delay_alu instid0(VALU_DEP_3) | instskip(SKIP_3) | instid1(VALU_DEP_2)
	v_or_b32_e32 v10, v14, v10
	s_wait_alu 0xfffd
	v_cndmask_b32_e64 v8, 0, 1, vcc_lo
	v_cmp_gt_i32_e32 vcc_lo, 1, v9
	v_or_b32_e32 v8, v15, v8
	s_wait_alu 0xfffd
	v_cndmask_b32_e32 v10, v12, v10, vcc_lo
	v_cmp_gt_i32_e32 vcc_lo, 1, v11
	s_delay_alu instid0(VALU_DEP_2)
	v_and_b32_e32 v12, 7, v10
	s_wait_alu 0xfffd
	v_cndmask_b32_e32 v8, v13, v8, vcc_lo
	v_cmp_ne_u32_e32 vcc_lo, 0, v4
	v_lshrrev_b32_e32 v10, 2, v10
	v_cmp_eq_u32_e64 s0, 3, v12
	s_delay_alu instid0(VALU_DEP_4)
	v_and_b32_e32 v13, 7, v8
	s_wait_alu 0xfffd
	v_cndmask_b32_e64 v4, 0, 1, vcc_lo
	v_cmp_ne_u32_e32 vcc_lo, 0, v6
	v_lshrrev_b32_e32 v8, 2, v8
	v_cmp_lt_i32_e64 s1, 5, v13
	v_cmp_eq_u32_e64 s2, 3, v13
	s_wait_alu 0xfffd
	v_cndmask_b32_e64 v6, 0, 1, vcc_lo
	v_cmp_lt_i32_e32 vcc_lo, 5, v12
	v_lshl_or_b32 v4, v4, 9, 0x7c00
	s_delay_alu instid0(VALU_DEP_3)
	v_lshl_or_b32 v6, v6, 9, 0x7c00
	s_or_b32 vcc_lo, s0, vcc_lo
	s_wait_alu 0xfffe
	v_add_co_ci_u32_e32 v10, vcc_lo, 0, v10, vcc_lo
	s_or_b32 vcc_lo, s2, s1
	s_wait_alu 0xfffe
	v_add_co_ci_u32_e32 v8, vcc_lo, 0, v8, vcc_lo
	v_cmp_gt_i32_e32 vcc_lo, 31, v9
	s_wait_alu 0xfffd
	v_cndmask_b32_e32 v10, 0x7c00, v10, vcc_lo
	v_cmp_gt_i32_e32 vcc_lo, 31, v11
	s_wait_alu 0xfffd
	v_cndmask_b32_e32 v8, 0x7c00, v8, vcc_lo
	v_cmp_eq_u32_e32 vcc_lo, 0x40f, v9
	s_wait_alu 0xfffd
	v_cndmask_b32_e32 v4, v10, v4, vcc_lo
	v_cmp_eq_u32_e32 vcc_lo, 0x40f, v11
	s_delay_alu instid0(VALU_DEP_2)
	v_and_or_b32 v4, 0x8000, v5, v4
	s_wait_alu 0xfffd
	v_cndmask_b32_e32 v6, v8, v6, vcc_lo
	v_add_co_u32 v0, vcc_lo, v0, s6
	s_wait_alu 0xfffd
	v_add_co_ci_u32_e32 v1, vcc_lo, s7, v1, vcc_lo
	s_delay_alu instid0(VALU_DEP_3) | instskip(SKIP_1) | instid1(VALU_DEP_1)
	v_and_or_b32 v5, 0x8000, v7, v6
	v_and_b32_e32 v4, 0xffff, v4
	v_lshl_or_b32 v4, v5, 16, v4
	global_store_b32 v[0:1], v4, off
	global_load_b32 v6, v[36:37], off offset:1568
	ds_load_2addr_b32 v[4:5], v45 offset0:136 offset1:161
	v_mad_co_u64_u32 v[0:1], null, 0xc8, s4, v[0:1]
	s_delay_alu instid0(VALU_DEP_1) | instskip(SKIP_4) | instid1(VALU_DEP_1)
	v_add_nc_u32_e32 v1, s3, v1
	s_wait_dscnt 0x0
	v_lshrrev_b32_e32 v7, 16, v4
	s_wait_loadcnt 0x0
	v_lshrrev_b32_e32 v8, 16, v6
	v_mul_f16_e32 v9, v7, v8
	v_mul_f16_e32 v8, v4, v8
	s_delay_alu instid0(VALU_DEP_2) | instskip(NEXT) | instid1(VALU_DEP_2)
	v_fmac_f16_e32 v9, v4, v6
	v_fma_f16 v4, v6, v7, -v8
	s_delay_alu instid0(VALU_DEP_2) | instskip(NEXT) | instid1(VALU_DEP_2)
	v_cvt_f32_f16_e32 v6, v9
	v_cvt_f32_f16_e32 v4, v4
	s_delay_alu instid0(VALU_DEP_2) | instskip(NEXT) | instid1(VALU_DEP_2)
	v_cvt_f64_f32_e32 v[6:7], v6
	v_cvt_f64_f32_e32 v[8:9], v4
	s_delay_alu instid0(VALU_DEP_2) | instskip(NEXT) | instid1(VALU_DEP_2)
	v_mul_f64_e32 v[6:7], s[8:9], v[6:7]
	v_mul_f64_e32 v[8:9], s[8:9], v[8:9]
	s_delay_alu instid0(VALU_DEP_2) | instskip(NEXT) | instid1(VALU_DEP_2)
	v_and_or_b32 v4, 0x1ff, v7, v6
	v_and_or_b32 v8, 0x1ff, v9, v8
	v_lshrrev_b32_e32 v6, 8, v7
	v_bfe_u32 v12, v7, 20, 11
	v_lshrrev_b32_e32 v10, 8, v9
	v_cmp_ne_u32_e32 vcc_lo, 0, v4
	v_bfe_u32 v13, v9, 20, 11
	v_lshrrev_b32_e32 v7, 16, v7
	v_sub_nc_u32_e32 v11, 0x3f1, v12
	v_lshrrev_b32_e32 v9, 16, v9
	s_wait_alu 0xfffd
	v_cndmask_b32_e64 v4, 0, 1, vcc_lo
	v_cmp_ne_u32_e32 vcc_lo, 0, v8
	v_sub_nc_u32_e32 v14, 0x3f1, v13
	v_add_nc_u32_e32 v13, 0xfffffc10, v13
	s_delay_alu instid0(VALU_DEP_4)
	v_and_or_b32 v6, 0xffe, v6, v4
	s_wait_alu 0xfffd
	v_cndmask_b32_e64 v8, 0, 1, vcc_lo
	v_med3_i32 v4, v11, 0, 13
	v_med3_i32 v14, v14, 0, 13
	v_or_b32_e32 v15, 0x1000, v6
	s_delay_alu instid0(VALU_DEP_4) | instskip(SKIP_1) | instid1(VALU_DEP_3)
	v_and_or_b32 v8, 0xffe, v10, v8
	v_mad_co_u64_u32 v[10:11], null, s4, v20, 0
	v_lshrrev_b32_e32 v17, v4, v15
	s_delay_alu instid0(VALU_DEP_3) | instskip(NEXT) | instid1(VALU_DEP_2)
	v_or_b32_e32 v16, 0x1000, v8
	v_lshlrev_b32_e32 v19, v4, v17
	s_delay_alu instid0(VALU_DEP_2) | instskip(SKIP_1) | instid1(VALU_DEP_3)
	v_lshrrev_b32_e32 v18, v14, v16
	v_mov_b32_e32 v4, v11
	v_cmp_ne_u32_e32 vcc_lo, v19, v15
	s_delay_alu instid0(VALU_DEP_3) | instskip(SKIP_3) | instid1(VALU_DEP_3)
	v_lshlrev_b32_e32 v11, v14, v18
	v_add_nc_u32_e32 v14, 0xfffffc10, v12
	s_wait_alu 0xfffd
	v_cndmask_b32_e64 v15, 0, 1, vcc_lo
	v_cmp_ne_u32_e32 vcc_lo, v11, v16
	v_mad_co_u64_u32 v[11:12], null, s5, v20, v[4:5]
	v_lshl_or_b32 v4, v14, 12, v6
	s_delay_alu instid0(VALU_DEP_4) | instskip(SKIP_4) | instid1(VALU_DEP_3)
	v_or_b32_e32 v12, v17, v15
	s_wait_alu 0xfffd
	v_cndmask_b32_e64 v16, 0, 1, vcc_lo
	v_cmp_gt_i32_e32 vcc_lo, 1, v14
	v_lshl_or_b32 v15, v13, 12, v8
	v_or_b32_e32 v16, v18, v16
	s_wait_alu 0xfffd
	v_cndmask_b32_e32 v4, v4, v12, vcc_lo
	v_cmp_gt_i32_e32 vcc_lo, 1, v13
	s_wait_alu 0xfffd
	v_cndmask_b32_e32 v12, v15, v16, vcc_lo
	v_cmp_ne_u32_e32 vcc_lo, 0, v6
	v_and_b32_e32 v15, 7, v4
	v_lshrrev_b32_e32 v4, 2, v4
	s_delay_alu instid0(VALU_DEP_4)
	v_and_b32_e32 v16, 7, v12
	s_wait_alu 0xfffd
	v_cndmask_b32_e64 v6, 0, 1, vcc_lo
	v_cmp_ne_u32_e32 vcc_lo, 0, v8
	v_cmp_eq_u32_e64 s0, 3, v15
	v_lshrrev_b32_e32 v12, 2, v12
	v_cmp_lt_i32_e64 s1, 5, v16
	v_cmp_eq_u32_e64 s2, 3, v16
	s_wait_alu 0xfffd
	v_cndmask_b32_e64 v8, 0, 1, vcc_lo
	v_cmp_lt_i32_e32 vcc_lo, 5, v15
	v_lshl_or_b32 v6, v6, 9, 0x7c00
	s_delay_alu instid0(VALU_DEP_3)
	v_lshl_or_b32 v8, v8, 9, 0x7c00
	s_or_b32 vcc_lo, s0, vcc_lo
	s_wait_alu 0xfffe
	v_add_co_ci_u32_e32 v4, vcc_lo, 0, v4, vcc_lo
	s_or_b32 vcc_lo, s2, s1
	s_wait_alu 0xfffe
	v_add_co_ci_u32_e32 v12, vcc_lo, 0, v12, vcc_lo
	v_cmp_gt_i32_e32 vcc_lo, 31, v14
	s_wait_alu 0xfffd
	v_cndmask_b32_e32 v4, 0x7c00, v4, vcc_lo
	v_cmp_gt_i32_e32 vcc_lo, 31, v13
	s_wait_alu 0xfffd
	v_cndmask_b32_e32 v12, 0x7c00, v12, vcc_lo
	v_cmp_eq_u32_e32 vcc_lo, 0x40f, v14
	s_wait_alu 0xfffd
	v_cndmask_b32_e32 v4, v4, v6, vcc_lo
	v_cmp_eq_u32_e32 vcc_lo, 0x40f, v13
	s_delay_alu instid0(VALU_DEP_2) | instskip(SKIP_3) | instid1(VALU_DEP_3)
	v_and_or_b32 v4, 0x8000, v7, v4
	s_wait_alu 0xfffd
	v_cndmask_b32_e32 v8, v12, v8, vcc_lo
	v_lshlrev_b64_e32 v[6:7], 2, v[10:11]
	v_and_b32_e32 v4, 0xffff, v4
	s_delay_alu instid0(VALU_DEP_3) | instskip(NEXT) | instid1(VALU_DEP_3)
	v_and_or_b32 v8, 0x8000, v9, v8
	v_add_co_u32 v2, vcc_lo, v2, v6
	s_wait_alu 0xfffd
	s_delay_alu instid0(VALU_DEP_4) | instskip(NEXT) | instid1(VALU_DEP_3)
	v_add_co_ci_u32_e32 v3, vcc_lo, v3, v7, vcc_lo
	v_lshl_or_b32 v4, v8, 16, v4
	global_store_b32 v[2:3], v4, off
	global_load_b32 v2, v[36:37], off offset:1668
	v_lshrrev_b32_e32 v3, 16, v5
	s_wait_loadcnt 0x0
	v_lshrrev_b32_e32 v4, 16, v2
	s_delay_alu instid0(VALU_DEP_1) | instskip(SKIP_1) | instid1(VALU_DEP_2)
	v_mul_f16_e32 v6, v3, v4
	v_mul_f16_e32 v4, v5, v4
	v_fmac_f16_e32 v6, v5, v2
	s_delay_alu instid0(VALU_DEP_2) | instskip(NEXT) | instid1(VALU_DEP_2)
	v_fma_f16 v2, v2, v3, -v4
	v_cvt_f32_f16_e32 v3, v6
	s_delay_alu instid0(VALU_DEP_2) | instskip(NEXT) | instid1(VALU_DEP_2)
	v_cvt_f32_f16_e32 v4, v2
	v_cvt_f64_f32_e32 v[2:3], v3
	s_delay_alu instid0(VALU_DEP_2) | instskip(NEXT) | instid1(VALU_DEP_2)
	v_cvt_f64_f32_e32 v[4:5], v4
	v_mul_f64_e32 v[2:3], s[8:9], v[2:3]
	s_delay_alu instid0(VALU_DEP_2) | instskip(NEXT) | instid1(VALU_DEP_2)
	v_mul_f64_e32 v[4:5], s[8:9], v[4:5]
	v_and_or_b32 v2, 0x1ff, v3, v2
	s_delay_alu instid0(VALU_DEP_2)
	v_and_or_b32 v4, 0x1ff, v5, v4
	v_lshrrev_b32_e32 v6, 8, v3
	v_bfe_u32 v7, v3, 20, 11
	v_lshrrev_b32_e32 v8, 8, v5
	v_cmp_ne_u32_e32 vcc_lo, 0, v2
	v_bfe_u32 v9, v5, 20, 11
	v_lshrrev_b32_e32 v3, 16, v3
	v_sub_nc_u32_e32 v10, 0x3f1, v7
	v_add_nc_u32_e32 v7, 0xfffffc10, v7
	s_wait_alu 0xfffd
	v_cndmask_b32_e64 v2, 0, 1, vcc_lo
	v_cmp_ne_u32_e32 vcc_lo, 0, v4
	v_lshrrev_b32_e32 v5, 16, v5
	s_delay_alu instid0(VALU_DEP_3) | instskip(SKIP_4) | instid1(VALU_DEP_3)
	v_and_or_b32 v2, 0xffe, v6, v2
	s_wait_alu 0xfffd
	v_cndmask_b32_e64 v4, 0, 1, vcc_lo
	v_sub_nc_u32_e32 v6, 0x3f1, v9
	v_add_nc_u32_e32 v9, 0xfffffc10, v9
	v_and_or_b32 v4, 0xffe, v8, v4
	v_med3_i32 v8, v10, 0, 13
	v_or_b32_e32 v10, 0x1000, v2
	v_med3_i32 v6, v6, 0, 13
	s_delay_alu instid0(VALU_DEP_4) | instskip(NEXT) | instid1(VALU_DEP_3)
	v_or_b32_e32 v11, 0x1000, v4
	v_lshrrev_b32_e32 v12, v8, v10
	s_delay_alu instid0(VALU_DEP_2) | instskip(NEXT) | instid1(VALU_DEP_2)
	v_lshrrev_b32_e32 v13, v6, v11
	v_lshlrev_b32_e32 v8, v8, v12
	s_delay_alu instid0(VALU_DEP_2) | instskip(NEXT) | instid1(VALU_DEP_2)
	v_lshlrev_b32_e32 v6, v6, v13
	v_cmp_ne_u32_e32 vcc_lo, v8, v10
	v_lshl_or_b32 v10, v7, 12, v2
	s_wait_alu 0xfffd
	v_cndmask_b32_e64 v8, 0, 1, vcc_lo
	v_cmp_ne_u32_e32 vcc_lo, v6, v11
	v_lshl_or_b32 v11, v9, 12, v4
	s_delay_alu instid0(VALU_DEP_3) | instskip(SKIP_3) | instid1(VALU_DEP_2)
	v_or_b32_e32 v8, v12, v8
	s_wait_alu 0xfffd
	v_cndmask_b32_e64 v6, 0, 1, vcc_lo
	v_cmp_gt_i32_e32 vcc_lo, 1, v7
	v_or_b32_e32 v6, v13, v6
	s_wait_alu 0xfffd
	v_cndmask_b32_e32 v8, v10, v8, vcc_lo
	v_cmp_gt_i32_e32 vcc_lo, 1, v9
	s_delay_alu instid0(VALU_DEP_2)
	v_and_b32_e32 v10, 7, v8
	s_wait_alu 0xfffd
	v_cndmask_b32_e32 v6, v11, v6, vcc_lo
	v_cmp_ne_u32_e32 vcc_lo, 0, v2
	v_lshrrev_b32_e32 v8, 2, v8
	v_cmp_eq_u32_e64 s0, 3, v10
	s_delay_alu instid0(VALU_DEP_4)
	v_and_b32_e32 v11, 7, v6
	s_wait_alu 0xfffd
	v_cndmask_b32_e64 v2, 0, 1, vcc_lo
	v_cmp_ne_u32_e32 vcc_lo, 0, v4
	v_lshrrev_b32_e32 v6, 2, v6
	v_cmp_lt_i32_e64 s1, 5, v11
	v_cmp_eq_u32_e64 s2, 3, v11
	s_wait_alu 0xfffd
	v_cndmask_b32_e64 v4, 0, 1, vcc_lo
	v_cmp_lt_i32_e32 vcc_lo, 5, v10
	v_lshl_or_b32 v2, v2, 9, 0x7c00
	s_delay_alu instid0(VALU_DEP_3)
	v_lshl_or_b32 v4, v4, 9, 0x7c00
	s_or_b32 vcc_lo, s0, vcc_lo
	s_wait_alu 0xfffe
	v_add_co_ci_u32_e32 v8, vcc_lo, 0, v8, vcc_lo
	s_or_b32 vcc_lo, s2, s1
	s_wait_alu 0xfffe
	v_add_co_ci_u32_e32 v6, vcc_lo, 0, v6, vcc_lo
	v_cmp_gt_i32_e32 vcc_lo, 31, v7
	s_wait_alu 0xfffd
	v_cndmask_b32_e32 v8, 0x7c00, v8, vcc_lo
	v_cmp_gt_i32_e32 vcc_lo, 31, v9
	s_wait_alu 0xfffd
	v_cndmask_b32_e32 v6, 0x7c00, v6, vcc_lo
	v_cmp_eq_u32_e32 vcc_lo, 0x40f, v7
	s_wait_alu 0xfffd
	v_cndmask_b32_e32 v2, v8, v2, vcc_lo
	v_cmp_eq_u32_e32 vcc_lo, 0x40f, v9
	s_delay_alu instid0(VALU_DEP_2) | instskip(SKIP_2) | instid1(VALU_DEP_2)
	v_and_or_b32 v2, 0x8000, v3, v2
	s_wait_alu 0xfffd
	v_cndmask_b32_e32 v4, v6, v4, vcc_lo
	v_and_b32_e32 v2, 0xffff, v2
	s_delay_alu instid0(VALU_DEP_2) | instskip(NEXT) | instid1(VALU_DEP_1)
	v_and_or_b32 v3, 0x8000, v5, v4
	v_lshl_or_b32 v2, v3, 16, v2
	global_store_b32 v[0:1], v2, off
.LBB0_15:
	s_nop 0
	s_sendmsg sendmsg(MSG_DEALLOC_VGPRS)
	s_endpgm
	.section	.rodata,"a",@progbits
	.p2align	6, 0x0
	.amdhsa_kernel bluestein_single_fwd_len425_dim1_half_op_CI_CI
		.amdhsa_group_segment_fixed_size 5100
		.amdhsa_private_segment_fixed_size 140
		.amdhsa_kernarg_size 104
		.amdhsa_user_sgpr_count 2
		.amdhsa_user_sgpr_dispatch_ptr 0
		.amdhsa_user_sgpr_queue_ptr 0
		.amdhsa_user_sgpr_kernarg_segment_ptr 1
		.amdhsa_user_sgpr_dispatch_id 0
		.amdhsa_user_sgpr_private_segment_size 0
		.amdhsa_wavefront_size32 1
		.amdhsa_uses_dynamic_stack 0
		.amdhsa_enable_private_segment 1
		.amdhsa_system_sgpr_workgroup_id_x 1
		.amdhsa_system_sgpr_workgroup_id_y 0
		.amdhsa_system_sgpr_workgroup_id_z 0
		.amdhsa_system_sgpr_workgroup_info 0
		.amdhsa_system_vgpr_workitem_id 0
		.amdhsa_next_free_vgpr 256
		.amdhsa_next_free_sgpr 16
		.amdhsa_reserve_vcc 1
		.amdhsa_float_round_mode_32 0
		.amdhsa_float_round_mode_16_64 0
		.amdhsa_float_denorm_mode_32 3
		.amdhsa_float_denorm_mode_16_64 3
		.amdhsa_fp16_overflow 0
		.amdhsa_workgroup_processor_mode 1
		.amdhsa_memory_ordered 1
		.amdhsa_forward_progress 0
		.amdhsa_round_robin_scheduling 0
		.amdhsa_exception_fp_ieee_invalid_op 0
		.amdhsa_exception_fp_denorm_src 0
		.amdhsa_exception_fp_ieee_div_zero 0
		.amdhsa_exception_fp_ieee_overflow 0
		.amdhsa_exception_fp_ieee_underflow 0
		.amdhsa_exception_fp_ieee_inexact 0
		.amdhsa_exception_int_div_zero 0
	.end_amdhsa_kernel
	.text
.Lfunc_end0:
	.size	bluestein_single_fwd_len425_dim1_half_op_CI_CI, .Lfunc_end0-bluestein_single_fwd_len425_dim1_half_op_CI_CI
                                        ; -- End function
	.section	.AMDGPU.csdata,"",@progbits
; Kernel info:
; codeLenInByte = 72176
; NumSgprs: 18
; NumVgprs: 256
; ScratchSize: 140
; MemoryBound: 0
; FloatMode: 240
; IeeeMode: 1
; LDSByteSize: 5100 bytes/workgroup (compile time only)
; SGPRBlocks: 2
; VGPRBlocks: 31
; NumSGPRsForWavesPerEU: 18
; NumVGPRsForWavesPerEU: 256
; Occupancy: 5
; WaveLimiterHint : 1
; COMPUTE_PGM_RSRC2:SCRATCH_EN: 1
; COMPUTE_PGM_RSRC2:USER_SGPR: 2
; COMPUTE_PGM_RSRC2:TRAP_HANDLER: 0
; COMPUTE_PGM_RSRC2:TGID_X_EN: 1
; COMPUTE_PGM_RSRC2:TGID_Y_EN: 0
; COMPUTE_PGM_RSRC2:TGID_Z_EN: 0
; COMPUTE_PGM_RSRC2:TIDIG_COMP_CNT: 0
	.text
	.p2alignl 7, 3214868480
	.fill 96, 4, 3214868480
	.type	__hip_cuid_3691fbdd88e7cfe6,@object ; @__hip_cuid_3691fbdd88e7cfe6
	.section	.bss,"aw",@nobits
	.globl	__hip_cuid_3691fbdd88e7cfe6
__hip_cuid_3691fbdd88e7cfe6:
	.byte	0                               ; 0x0
	.size	__hip_cuid_3691fbdd88e7cfe6, 1

	.ident	"AMD clang version 19.0.0git (https://github.com/RadeonOpenCompute/llvm-project roc-6.4.0 25133 c7fe45cf4b819c5991fe208aaa96edf142730f1d)"
	.section	".note.GNU-stack","",@progbits
	.addrsig
	.addrsig_sym __hip_cuid_3691fbdd88e7cfe6
	.amdgpu_metadata
---
amdhsa.kernels:
  - .args:
      - .actual_access:  read_only
        .address_space:  global
        .offset:         0
        .size:           8
        .value_kind:     global_buffer
      - .actual_access:  read_only
        .address_space:  global
        .offset:         8
        .size:           8
        .value_kind:     global_buffer
      - .actual_access:  read_only
        .address_space:  global
        .offset:         16
        .size:           8
        .value_kind:     global_buffer
      - .actual_access:  read_only
        .address_space:  global
        .offset:         24
        .size:           8
        .value_kind:     global_buffer
      - .actual_access:  read_only
        .address_space:  global
        .offset:         32
        .size:           8
        .value_kind:     global_buffer
      - .offset:         40
        .size:           8
        .value_kind:     by_value
      - .address_space:  global
        .offset:         48
        .size:           8
        .value_kind:     global_buffer
      - .address_space:  global
        .offset:         56
        .size:           8
        .value_kind:     global_buffer
      - .address_space:  global
        .offset:         64
        .size:           8
        .value_kind:     global_buffer
      - .address_space:  global
        .offset:         72
        .size:           8
        .value_kind:     global_buffer
      - .offset:         80
        .size:           4
        .value_kind:     by_value
      - .address_space:  global
        .offset:         88
        .size:           8
        .value_kind:     global_buffer
      - .address_space:  global
        .offset:         96
        .size:           8
        .value_kind:     global_buffer
    .group_segment_fixed_size: 5100
    .kernarg_segment_align: 8
    .kernarg_segment_size: 104
    .language:       OpenCL C
    .language_version:
      - 2
      - 0
    .max_flat_workgroup_size: 51
    .name:           bluestein_single_fwd_len425_dim1_half_op_CI_CI
    .private_segment_fixed_size: 140
    .sgpr_count:     18
    .sgpr_spill_count: 0
    .symbol:         bluestein_single_fwd_len425_dim1_half_op_CI_CI.kd
    .uniform_work_group_size: 1
    .uses_dynamic_stack: false
    .vgpr_count:     256
    .vgpr_spill_count: 39
    .wavefront_size: 32
    .workgroup_processor_mode: 1
amdhsa.target:   amdgcn-amd-amdhsa--gfx1201
amdhsa.version:
  - 1
  - 2
...

	.end_amdgpu_metadata
